;; amdgpu-corpus repo=ROCm/rccl kind=compiled arch=gfx90a opt=O3
	.text
	.amdgcn_target "amdgcn-amd-amdhsa--gfx90a"
	.amdhsa_code_object_version 6
	.p2align	2                               ; -- Begin function __ockl_fprintf_append_string_n
	.type	__ockl_fprintf_append_string_n,@function
__ockl_fprintf_append_string_n:         ; @__ockl_fprintf_append_string_n
; %bb.0:
	s_waitcnt vmcnt(0) expcnt(0) lgkmcnt(0)
	v_mov_b32_e32 v9, v3
	v_mov_b32_e32 v8, v2
	v_or_b32_e32 v2, 2, v0
	v_cmp_eq_u32_e32 vcc, 0, v6
	s_mov_b32 s22, 0
	v_cndmask_b32_e32 v0, v2, v0, vcc
	s_mov_b64 s[6:7], 0
	v_cmp_ne_u64_e32 vcc, 0, v[8:9]
	v_mbcnt_lo_u32_b32 v2, -1, 0
	s_and_saveexec_b64 s[4:5], vcc
	s_xor_b64 s[10:11], exec, s[4:5]
	s_cbranch_execz .LBB0_86
; %bb.1:
	s_load_dwordx2 s[12:13], s[8:9], 0x50
	v_and_b32_e32 v6, 2, v0
	v_mov_b32_e32 v31, 0
	v_and_b32_e32 v0, -3, v0
	v_mbcnt_hi_u32_b32 v32, -1, v2
	s_movk_i32 s23, 0xff1f
	v_mov_b32_e32 v12, 2
	v_mov_b32_e32 v13, 1
	s_branch .LBB0_3
.LBB0_2:                                ;   in Loop: Header=BB0_3 Depth=1
	s_or_b64 exec, exec, s[16:17]
	v_sub_co_u32_e32 v4, vcc, v4, v34
	v_subb_co_u32_e32 v5, vcc, v5, v35, vcc
	v_cmp_eq_u64_e32 vcc, 0, v[4:5]
	s_or_b64 s[6:7], vcc, s[6:7]
	v_add_co_u32_e32 v8, vcc, v8, v34
	v_addc_co_u32_e32 v9, vcc, v9, v35, vcc
	s_andn2_b64 exec, exec, s[6:7]
	s_cbranch_execz .LBB0_85
.LBB0_3:                                ; =>This Loop Header: Depth=1
                                        ;     Child Loop BB0_6 Depth 2
                                        ;     Child Loop BB0_14 Depth 2
	;; [unrolled: 1-line block ×11, first 2 shown]
	v_cmp_gt_u64_e32 vcc, 56, v[4:5]
	v_cndmask_b32_e32 v35, 0, v5, vcc
	v_cndmask_b32_e32 v34, 56, v4, vcc
	v_cmp_gt_u64_e32 vcc, 8, v[4:5]
                                        ; implicit-def: $vgpr2_vgpr3
                                        ; implicit-def: $sgpr14
	s_and_saveexec_b64 s[4:5], vcc
	s_xor_b64 s[4:5], exec, s[4:5]
	s_cbranch_execz .LBB0_9
; %bb.4:                                ;   in Loop: Header=BB0_3 Depth=1
	s_mov_b64 s[16:17], 0
	v_cmp_ne_u64_e32 vcc, 0, v[4:5]
	s_waitcnt vmcnt(0)
	v_pk_mov_b32 v[2:3], 0, 0
	s_and_saveexec_b64 s[14:15], vcc
	s_cbranch_execz .LBB0_8
; %bb.5:                                ;   in Loop: Header=BB0_3 Depth=1
	v_lshlrev_b64 v[10:11], 3, v[34:35]
	v_pk_mov_b32 v[2:3], 0, 0
	v_pk_mov_b32 v[14:15], v[8:9], v[8:9] op_sel:[0,1]
	s_mov_b64 s[18:19], 0
.LBB0_6:                                ;   Parent Loop BB0_3 Depth=1
                                        ; =>  This Inner Loop Header: Depth=2
	flat_load_ubyte v7, v[14:15]
	v_mov_b32_e32 v17, s22
	v_add_co_u32_e32 v14, vcc, 1, v14
	v_addc_co_u32_e32 v15, vcc, 0, v15, vcc
	s_waitcnt vmcnt(0) lgkmcnt(0)
	v_and_b32_e32 v16, 0xffff, v7
	v_lshlrev_b64 v[16:17], s18, v[16:17]
	s_add_u32 s18, s18, 8
	s_addc_u32 s19, s19, 0
	v_cmp_eq_u32_e32 vcc, s18, v10
	v_or_b32_e32 v3, v17, v3
	s_or_b64 s[16:17], vcc, s[16:17]
	v_or_b32_e32 v2, v16, v2
	s_andn2_b64 exec, exec, s[16:17]
	s_cbranch_execnz .LBB0_6
; %bb.7:                                ;   in Loop: Header=BB0_3 Depth=1
	s_or_b64 exec, exec, s[16:17]
.LBB0_8:                                ;   in Loop: Header=BB0_3 Depth=1
	s_or_b64 exec, exec, s[14:15]
	s_mov_b32 s14, 0
.LBB0_9:                                ;   in Loop: Header=BB0_3 Depth=1
	s_or_saveexec_b64 s[4:5], s[4:5]
	v_mov_b32_e32 v7, s14
	v_pk_mov_b32 v[10:11], v[8:9], v[8:9] op_sel:[0,1]
	s_xor_b64 exec, exec, s[4:5]
	s_cbranch_execz .LBB0_11
; %bb.10:                               ;   in Loop: Header=BB0_3 Depth=1
	s_waitcnt vmcnt(0)
	flat_load_dwordx2 v[2:3], v[8:9]
	v_add_u32_e32 v7, -8, v34
	s_waitcnt vmcnt(0) lgkmcnt(0)
	v_and_b32_e32 v10, 0xff, v3
	v_and_b32_e32 v11, 0xff00, v3
	;; [unrolled: 1-line block ×4, first 2 shown]
	v_or_b32_e32 v10, v10, v11
	v_or3_b32 v3, v10, v14, v3
	v_add_co_u32_e32 v10, vcc, 8, v8
	v_or3_b32 v2, v2, 0, 0
	v_addc_co_u32_e32 v11, vcc, 0, v9, vcc
.LBB0_11:                               ;   in Loop: Header=BB0_3 Depth=1
	s_or_b64 exec, exec, s[4:5]
	v_cmp_gt_u32_e32 vcc, 8, v7
                                        ; implicit-def: $vgpr14_vgpr15
                                        ; implicit-def: $sgpr14
	s_and_saveexec_b64 s[4:5], vcc
	s_xor_b64 s[4:5], exec, s[4:5]
	s_cbranch_execz .LBB0_17
; %bb.12:                               ;   in Loop: Header=BB0_3 Depth=1
	v_cmp_ne_u32_e32 vcc, 0, v7
	v_pk_mov_b32 v[14:15], 0, 0
	s_and_saveexec_b64 s[14:15], vcc
	s_cbranch_execz .LBB0_16
; %bb.13:                               ;   in Loop: Header=BB0_3 Depth=1
	s_mov_b64 s[16:17], 0
	v_pk_mov_b32 v[14:15], 0, 0
	s_mov_b64 s[18:19], 0
	s_mov_b64 s[20:21], 0
.LBB0_14:                               ;   Parent Loop BB0_3 Depth=1
                                        ; =>  This Inner Loop Header: Depth=2
	v_mov_b32_e32 v17, s21
	v_add_co_u32_e32 v16, vcc, s20, v10
	v_addc_co_u32_e32 v17, vcc, v11, v17, vcc
	flat_load_ubyte v16, v[16:17]
	s_add_u32 s20, s20, 1
	v_mov_b32_e32 v17, s22
	s_addc_u32 s21, s21, 0
	v_cmp_eq_u32_e32 vcc, s20, v7
	s_waitcnt vmcnt(0) lgkmcnt(0)
	v_and_b32_e32 v16, 0xffff, v16
	v_lshlrev_b64 v[16:17], s18, v[16:17]
	s_add_u32 s18, s18, 8
	s_addc_u32 s19, s19, 0
	v_or_b32_e32 v15, v17, v15
	s_or_b64 s[16:17], vcc, s[16:17]
	v_or_b32_e32 v14, v16, v14
	s_andn2_b64 exec, exec, s[16:17]
	s_cbranch_execnz .LBB0_14
; %bb.15:                               ;   in Loop: Header=BB0_3 Depth=1
	s_or_b64 exec, exec, s[16:17]
.LBB0_16:                               ;   in Loop: Header=BB0_3 Depth=1
	s_or_b64 exec, exec, s[14:15]
	s_mov_b32 s14, 0
                                        ; implicit-def: $vgpr7
.LBB0_17:                               ;   in Loop: Header=BB0_3 Depth=1
	s_or_saveexec_b64 s[4:5], s[4:5]
	v_mov_b32_e32 v18, s14
	s_xor_b64 exec, exec, s[4:5]
	s_cbranch_execz .LBB0_19
; %bb.18:                               ;   in Loop: Header=BB0_3 Depth=1
	flat_load_dwordx2 v[14:15], v[10:11]
	v_add_u32_e32 v18, -8, v7
	v_add_co_u32_e32 v10, vcc, 8, v10
	v_addc_co_u32_e32 v11, vcc, 0, v11, vcc
	s_waitcnt vmcnt(0) lgkmcnt(0)
	v_and_b32_e32 v7, 0xff, v15
	v_and_b32_e32 v16, 0xff00, v15
	;; [unrolled: 1-line block ×4, first 2 shown]
	v_or_b32_e32 v7, v7, v16
	v_or3_b32 v14, v14, 0, 0
	v_or3_b32 v15, v7, v17, v15
.LBB0_19:                               ;   in Loop: Header=BB0_3 Depth=1
	s_or_b64 exec, exec, s[4:5]
	v_cmp_gt_u32_e32 vcc, 8, v18
                                        ; implicit-def: $sgpr14
	s_and_saveexec_b64 s[4:5], vcc
	s_xor_b64 s[4:5], exec, s[4:5]
	s_cbranch_execz .LBB0_25
; %bb.20:                               ;   in Loop: Header=BB0_3 Depth=1
	v_cmp_ne_u32_e32 vcc, 0, v18
	v_pk_mov_b32 v[16:17], 0, 0
	s_and_saveexec_b64 s[14:15], vcc
	s_cbranch_execz .LBB0_24
; %bb.21:                               ;   in Loop: Header=BB0_3 Depth=1
	s_mov_b64 s[16:17], 0
	v_pk_mov_b32 v[16:17], 0, 0
	s_mov_b64 s[18:19], 0
	s_mov_b64 s[20:21], 0
.LBB0_22:                               ;   Parent Loop BB0_3 Depth=1
                                        ; =>  This Inner Loop Header: Depth=2
	v_mov_b32_e32 v7, s21
	v_add_co_u32_e32 v20, vcc, s20, v10
	v_addc_co_u32_e32 v21, vcc, v11, v7, vcc
	flat_load_ubyte v7, v[20:21]
	s_add_u32 s20, s20, 1
	v_mov_b32_e32 v21, s22
	s_addc_u32 s21, s21, 0
	v_cmp_eq_u32_e32 vcc, s20, v18
	s_waitcnt vmcnt(0) lgkmcnt(0)
	v_and_b32_e32 v20, 0xffff, v7
	v_lshlrev_b64 v[20:21], s18, v[20:21]
	s_add_u32 s18, s18, 8
	s_addc_u32 s19, s19, 0
	v_or_b32_e32 v17, v21, v17
	s_or_b64 s[16:17], vcc, s[16:17]
	v_or_b32_e32 v16, v20, v16
	s_andn2_b64 exec, exec, s[16:17]
	s_cbranch_execnz .LBB0_22
; %bb.23:                               ;   in Loop: Header=BB0_3 Depth=1
	s_or_b64 exec, exec, s[16:17]
.LBB0_24:                               ;   in Loop: Header=BB0_3 Depth=1
	s_or_b64 exec, exec, s[14:15]
	s_mov_b32 s14, 0
                                        ; implicit-def: $vgpr18
.LBB0_25:                               ;   in Loop: Header=BB0_3 Depth=1
	s_or_saveexec_b64 s[4:5], s[4:5]
	v_mov_b32_e32 v7, s14
	s_xor_b64 exec, exec, s[4:5]
	s_cbranch_execz .LBB0_27
; %bb.26:                               ;   in Loop: Header=BB0_3 Depth=1
	flat_load_dwordx2 v[16:17], v[10:11]
	v_add_u32_e32 v7, -8, v18
	v_add_co_u32_e32 v10, vcc, 8, v10
	v_addc_co_u32_e32 v11, vcc, 0, v11, vcc
	s_waitcnt vmcnt(0) lgkmcnt(0)
	v_and_b32_e32 v18, 0xff, v17
	v_and_b32_e32 v19, 0xff00, v17
	;; [unrolled: 1-line block ×4, first 2 shown]
	v_or_b32_e32 v18, v18, v19
	v_or3_b32 v16, v16, 0, 0
	v_or3_b32 v17, v18, v20, v17
.LBB0_27:                               ;   in Loop: Header=BB0_3 Depth=1
	s_or_b64 exec, exec, s[4:5]
	v_cmp_gt_u32_e32 vcc, 8, v7
                                        ; implicit-def: $vgpr18_vgpr19
                                        ; implicit-def: $sgpr14
	s_and_saveexec_b64 s[4:5], vcc
	s_xor_b64 s[4:5], exec, s[4:5]
	s_cbranch_execz .LBB0_33
; %bb.28:                               ;   in Loop: Header=BB0_3 Depth=1
	v_cmp_ne_u32_e32 vcc, 0, v7
	v_pk_mov_b32 v[18:19], 0, 0
	s_and_saveexec_b64 s[14:15], vcc
	s_cbranch_execz .LBB0_32
; %bb.29:                               ;   in Loop: Header=BB0_3 Depth=1
	s_mov_b64 s[16:17], 0
	v_pk_mov_b32 v[18:19], 0, 0
	s_mov_b64 s[18:19], 0
	s_mov_b64 s[20:21], 0
.LBB0_30:                               ;   Parent Loop BB0_3 Depth=1
                                        ; =>  This Inner Loop Header: Depth=2
	v_mov_b32_e32 v21, s21
	v_add_co_u32_e32 v20, vcc, s20, v10
	v_addc_co_u32_e32 v21, vcc, v11, v21, vcc
	flat_load_ubyte v20, v[20:21]
	s_add_u32 s20, s20, 1
	v_mov_b32_e32 v21, s22
	s_addc_u32 s21, s21, 0
	v_cmp_eq_u32_e32 vcc, s20, v7
	s_waitcnt vmcnt(0) lgkmcnt(0)
	v_and_b32_e32 v20, 0xffff, v20
	v_lshlrev_b64 v[20:21], s18, v[20:21]
	s_add_u32 s18, s18, 8
	s_addc_u32 s19, s19, 0
	v_or_b32_e32 v19, v21, v19
	s_or_b64 s[16:17], vcc, s[16:17]
	v_or_b32_e32 v18, v20, v18
	s_andn2_b64 exec, exec, s[16:17]
	s_cbranch_execnz .LBB0_30
; %bb.31:                               ;   in Loop: Header=BB0_3 Depth=1
	s_or_b64 exec, exec, s[16:17]
.LBB0_32:                               ;   in Loop: Header=BB0_3 Depth=1
	s_or_b64 exec, exec, s[14:15]
	s_mov_b32 s14, 0
                                        ; implicit-def: $vgpr7
.LBB0_33:                               ;   in Loop: Header=BB0_3 Depth=1
	s_or_saveexec_b64 s[4:5], s[4:5]
	v_mov_b32_e32 v22, s14
	s_xor_b64 exec, exec, s[4:5]
	s_cbranch_execz .LBB0_35
; %bb.34:                               ;   in Loop: Header=BB0_3 Depth=1
	flat_load_dwordx2 v[18:19], v[10:11]
	v_add_u32_e32 v22, -8, v7
	v_add_co_u32_e32 v10, vcc, 8, v10
	v_addc_co_u32_e32 v11, vcc, 0, v11, vcc
	s_waitcnt vmcnt(0) lgkmcnt(0)
	v_and_b32_e32 v7, 0xff, v19
	v_and_b32_e32 v20, 0xff00, v19
	;; [unrolled: 1-line block ×4, first 2 shown]
	v_or_b32_e32 v7, v7, v20
	v_or3_b32 v18, v18, 0, 0
	v_or3_b32 v19, v7, v21, v19
.LBB0_35:                               ;   in Loop: Header=BB0_3 Depth=1
	s_or_b64 exec, exec, s[4:5]
	v_cmp_gt_u32_e32 vcc, 8, v22
                                        ; implicit-def: $sgpr14
	s_and_saveexec_b64 s[4:5], vcc
	s_xor_b64 s[4:5], exec, s[4:5]
	s_cbranch_execz .LBB0_41
; %bb.36:                               ;   in Loop: Header=BB0_3 Depth=1
	v_cmp_ne_u32_e32 vcc, 0, v22
	v_pk_mov_b32 v[20:21], 0, 0
	s_and_saveexec_b64 s[14:15], vcc
	s_cbranch_execz .LBB0_40
; %bb.37:                               ;   in Loop: Header=BB0_3 Depth=1
	s_mov_b64 s[16:17], 0
	v_pk_mov_b32 v[20:21], 0, 0
	s_mov_b64 s[18:19], 0
	s_mov_b64 s[20:21], 0
.LBB0_38:                               ;   Parent Loop BB0_3 Depth=1
                                        ; =>  This Inner Loop Header: Depth=2
	v_mov_b32_e32 v7, s21
	v_add_co_u32_e32 v24, vcc, s20, v10
	v_addc_co_u32_e32 v25, vcc, v11, v7, vcc
	flat_load_ubyte v7, v[24:25]
	s_add_u32 s20, s20, 1
	v_mov_b32_e32 v25, s22
	s_addc_u32 s21, s21, 0
	v_cmp_eq_u32_e32 vcc, s20, v22
	s_waitcnt vmcnt(0) lgkmcnt(0)
	v_and_b32_e32 v24, 0xffff, v7
	v_lshlrev_b64 v[24:25], s18, v[24:25]
	s_add_u32 s18, s18, 8
	s_addc_u32 s19, s19, 0
	v_or_b32_e32 v21, v25, v21
	s_or_b64 s[16:17], vcc, s[16:17]
	v_or_b32_e32 v20, v24, v20
	s_andn2_b64 exec, exec, s[16:17]
	s_cbranch_execnz .LBB0_38
; %bb.39:                               ;   in Loop: Header=BB0_3 Depth=1
	s_or_b64 exec, exec, s[16:17]
.LBB0_40:                               ;   in Loop: Header=BB0_3 Depth=1
	s_or_b64 exec, exec, s[14:15]
	s_mov_b32 s14, 0
                                        ; implicit-def: $vgpr22
.LBB0_41:                               ;   in Loop: Header=BB0_3 Depth=1
	s_or_saveexec_b64 s[4:5], s[4:5]
	v_mov_b32_e32 v7, s14
	s_xor_b64 exec, exec, s[4:5]
	s_cbranch_execz .LBB0_43
; %bb.42:                               ;   in Loop: Header=BB0_3 Depth=1
	flat_load_dwordx2 v[20:21], v[10:11]
	v_add_u32_e32 v7, -8, v22
	v_add_co_u32_e32 v10, vcc, 8, v10
	v_addc_co_u32_e32 v11, vcc, 0, v11, vcc
	s_waitcnt vmcnt(0) lgkmcnt(0)
	v_and_b32_e32 v22, 0xff, v21
	v_and_b32_e32 v23, 0xff00, v21
	;; [unrolled: 1-line block ×4, first 2 shown]
	v_or_b32_e32 v22, v22, v23
	v_or3_b32 v20, v20, 0, 0
	v_or3_b32 v21, v22, v24, v21
.LBB0_43:                               ;   in Loop: Header=BB0_3 Depth=1
	s_or_b64 exec, exec, s[4:5]
	v_cmp_gt_u32_e32 vcc, 8, v7
                                        ; implicit-def: $vgpr22_vgpr23
                                        ; implicit-def: $sgpr14
	s_and_saveexec_b64 s[4:5], vcc
	s_xor_b64 s[4:5], exec, s[4:5]
	s_cbranch_execz .LBB0_49
; %bb.44:                               ;   in Loop: Header=BB0_3 Depth=1
	v_cmp_ne_u32_e32 vcc, 0, v7
	v_pk_mov_b32 v[22:23], 0, 0
	s_and_saveexec_b64 s[14:15], vcc
	s_cbranch_execz .LBB0_48
; %bb.45:                               ;   in Loop: Header=BB0_3 Depth=1
	s_mov_b64 s[16:17], 0
	v_pk_mov_b32 v[22:23], 0, 0
	s_mov_b64 s[18:19], 0
	s_mov_b64 s[20:21], 0
.LBB0_46:                               ;   Parent Loop BB0_3 Depth=1
                                        ; =>  This Inner Loop Header: Depth=2
	v_mov_b32_e32 v25, s21
	v_add_co_u32_e32 v24, vcc, s20, v10
	v_addc_co_u32_e32 v25, vcc, v11, v25, vcc
	flat_load_ubyte v24, v[24:25]
	s_add_u32 s20, s20, 1
	v_mov_b32_e32 v25, s22
	s_addc_u32 s21, s21, 0
	v_cmp_eq_u32_e32 vcc, s20, v7
	s_waitcnt vmcnt(0) lgkmcnt(0)
	v_and_b32_e32 v24, 0xffff, v24
	v_lshlrev_b64 v[24:25], s18, v[24:25]
	s_add_u32 s18, s18, 8
	s_addc_u32 s19, s19, 0
	v_or_b32_e32 v23, v25, v23
	s_or_b64 s[16:17], vcc, s[16:17]
	v_or_b32_e32 v22, v24, v22
	s_andn2_b64 exec, exec, s[16:17]
	s_cbranch_execnz .LBB0_46
; %bb.47:                               ;   in Loop: Header=BB0_3 Depth=1
	s_or_b64 exec, exec, s[16:17]
.LBB0_48:                               ;   in Loop: Header=BB0_3 Depth=1
	s_or_b64 exec, exec, s[14:15]
	s_mov_b32 s14, 0
                                        ; implicit-def: $vgpr7
.LBB0_49:                               ;   in Loop: Header=BB0_3 Depth=1
	s_or_saveexec_b64 s[4:5], s[4:5]
	v_mov_b32_e32 v26, s14
	s_xor_b64 exec, exec, s[4:5]
	s_cbranch_execz .LBB0_51
; %bb.50:                               ;   in Loop: Header=BB0_3 Depth=1
	flat_load_dwordx2 v[22:23], v[10:11]
	v_add_u32_e32 v26, -8, v7
	v_add_co_u32_e32 v10, vcc, 8, v10
	v_addc_co_u32_e32 v11, vcc, 0, v11, vcc
	s_waitcnt vmcnt(0) lgkmcnt(0)
	v_and_b32_e32 v7, 0xff, v23
	v_and_b32_e32 v24, 0xff00, v23
	v_and_b32_e32 v25, 0xff0000, v23
	v_and_b32_e32 v23, 0xff000000, v23
	v_or_b32_e32 v7, v7, v24
	v_or3_b32 v22, v22, 0, 0
	v_or3_b32 v23, v7, v25, v23
.LBB0_51:                               ;   in Loop: Header=BB0_3 Depth=1
	s_or_b64 exec, exec, s[4:5]
	v_cmp_gt_u32_e32 vcc, 8, v26
	s_and_saveexec_b64 s[4:5], vcc
	s_xor_b64 s[4:5], exec, s[4:5]
	s_cbranch_execz .LBB0_57
; %bb.52:                               ;   in Loop: Header=BB0_3 Depth=1
	v_cmp_ne_u32_e32 vcc, 0, v26
	v_pk_mov_b32 v[24:25], 0, 0
	s_and_saveexec_b64 s[14:15], vcc
	s_cbranch_execz .LBB0_56
; %bb.53:                               ;   in Loop: Header=BB0_3 Depth=1
	s_mov_b64 s[16:17], 0
	v_pk_mov_b32 v[24:25], 0, 0
	s_mov_b64 s[18:19], 0
.LBB0_54:                               ;   Parent Loop BB0_3 Depth=1
                                        ; =>  This Inner Loop Header: Depth=2
	flat_load_ubyte v7, v[10:11]
	v_mov_b32_e32 v29, s22
	v_add_co_u32_e32 v10, vcc, 1, v10
	v_add_u32_e32 v26, -1, v26
	v_addc_co_u32_e32 v11, vcc, 0, v11, vcc
	v_cmp_eq_u32_e32 vcc, 0, v26
	s_waitcnt vmcnt(0) lgkmcnt(0)
	v_and_b32_e32 v28, 0xffff, v7
	v_lshlrev_b64 v[28:29], s18, v[28:29]
	s_add_u32 s18, s18, 8
	s_addc_u32 s19, s19, 0
	v_or_b32_e32 v25, v29, v25
	s_or_b64 s[16:17], vcc, s[16:17]
	v_or_b32_e32 v24, v28, v24
	s_andn2_b64 exec, exec, s[16:17]
	s_cbranch_execnz .LBB0_54
; %bb.55:                               ;   in Loop: Header=BB0_3 Depth=1
	s_or_b64 exec, exec, s[16:17]
.LBB0_56:                               ;   in Loop: Header=BB0_3 Depth=1
	s_or_b64 exec, exec, s[14:15]
                                        ; implicit-def: $vgpr10_vgpr11
.LBB0_57:                               ;   in Loop: Header=BB0_3 Depth=1
	s_andn2_saveexec_b64 s[4:5], s[4:5]
	s_cbranch_execz .LBB0_59
; %bb.58:                               ;   in Loop: Header=BB0_3 Depth=1
	flat_load_dwordx2 v[10:11], v[10:11]
	s_waitcnt vmcnt(0) lgkmcnt(0)
	v_and_b32_e32 v7, 0xff, v11
	v_and_b32_e32 v24, 0xff00, v11
	;; [unrolled: 1-line block ×4, first 2 shown]
	v_or_b32_e32 v7, v7, v24
	v_or3_b32 v25, v7, v25, v11
	v_or3_b32 v24, v10, 0, 0
.LBB0_59:                               ;   in Loop: Header=BB0_3 Depth=1
	s_or_b64 exec, exec, s[4:5]
	v_readfirstlane_b32 s4, v32
	v_cmp_eq_u32_e64 s[4:5], s4, v32
	v_pk_mov_b32 v[10:11], 0, 0
	s_and_saveexec_b64 s[14:15], s[4:5]
	s_cbranch_execz .LBB0_65
; %bb.60:                               ;   in Loop: Header=BB0_3 Depth=1
	s_waitcnt lgkmcnt(0)
	global_load_dwordx2 v[28:29], v31, s[12:13] offset:24 glc
	s_waitcnt vmcnt(0)
	buffer_invl2
	buffer_wbinvl1_vol
	global_load_dwordx2 v[10:11], v31, s[12:13] offset:40
	global_load_dwordx2 v[26:27], v31, s[12:13]
	s_waitcnt vmcnt(1)
	v_and_b32_e32 v7, v10, v28
	v_and_b32_e32 v10, v11, v29
	v_mul_lo_u32 v10, v10, 24
	v_mul_hi_u32 v11, v7, 24
	v_mul_lo_u32 v7, v7, 24
	v_add_u32_e32 v11, v11, v10
	s_waitcnt vmcnt(0)
	v_add_co_u32_e32 v10, vcc, v26, v7
	v_addc_co_u32_e32 v11, vcc, v27, v11, vcc
	global_load_dwordx2 v[26:27], v[10:11], off glc
	s_waitcnt vmcnt(0)
	global_atomic_cmpswap_x2 v[10:11], v31, v[26:29], s[12:13] offset:24 glc
	s_waitcnt vmcnt(0)
	buffer_invl2
	buffer_wbinvl1_vol
	v_cmp_ne_u64_e32 vcc, v[10:11], v[28:29]
	s_and_saveexec_b64 s[16:17], vcc
	s_cbranch_execz .LBB0_64
; %bb.61:                               ;   in Loop: Header=BB0_3 Depth=1
	s_mov_b64 s[18:19], 0
.LBB0_62:                               ;   Parent Loop BB0_3 Depth=1
                                        ; =>  This Inner Loop Header: Depth=2
	s_sleep 1
	global_load_dwordx2 v[26:27], v31, s[12:13] offset:40
	global_load_dwordx2 v[36:37], v31, s[12:13]
	v_pk_mov_b32 v[28:29], v[10:11], v[10:11] op_sel:[0,1]
	s_waitcnt vmcnt(1)
	v_and_b32_e32 v10, v26, v28
	s_waitcnt vmcnt(0)
	v_mad_u64_u32 v[10:11], s[20:21], v10, 24, v[36:37]
	v_and_b32_e32 v7, v27, v29
	v_mov_b32_e32 v26, v11
	v_mad_u64_u32 v[26:27], s[20:21], v7, 24, v[26:27]
	v_mov_b32_e32 v11, v26
	global_load_dwordx2 v[26:27], v[10:11], off glc
	s_waitcnt vmcnt(0)
	global_atomic_cmpswap_x2 v[10:11], v31, v[26:29], s[12:13] offset:24 glc
	s_waitcnt vmcnt(0)
	buffer_invl2
	buffer_wbinvl1_vol
	v_cmp_eq_u64_e32 vcc, v[10:11], v[28:29]
	s_or_b64 s[18:19], vcc, s[18:19]
	s_andn2_b64 exec, exec, s[18:19]
	s_cbranch_execnz .LBB0_62
; %bb.63:                               ;   in Loop: Header=BB0_3 Depth=1
	s_or_b64 exec, exec, s[18:19]
.LBB0_64:                               ;   in Loop: Header=BB0_3 Depth=1
	s_or_b64 exec, exec, s[16:17]
.LBB0_65:                               ;   in Loop: Header=BB0_3 Depth=1
	s_or_b64 exec, exec, s[14:15]
	s_waitcnt lgkmcnt(0)
	global_load_dwordx2 v[36:37], v31, s[12:13] offset:40
	global_load_dwordx4 v[26:29], v31, s[12:13]
	v_readfirstlane_b32 s14, v10
	v_readfirstlane_b32 s15, v11
	s_mov_b64 s[16:17], exec
	s_waitcnt vmcnt(1)
	v_readfirstlane_b32 s18, v36
	v_readfirstlane_b32 s19, v37
	s_and_b64 s[18:19], s[14:15], s[18:19]
	s_mul_i32 s20, s19, 24
	s_mul_hi_u32 s21, s18, 24
	s_mul_i32 s24, s18, 24
	s_add_i32 s20, s21, s20
	v_mov_b32_e32 v7, s20
	s_waitcnt vmcnt(0)
	v_add_co_u32_e32 v36, vcc, s24, v26
	v_addc_co_u32_e32 v37, vcc, v27, v7, vcc
	s_and_saveexec_b64 s[20:21], s[4:5]
	s_cbranch_execz .LBB0_67
; %bb.66:                               ;   in Loop: Header=BB0_3 Depth=1
	v_pk_mov_b32 v[10:11], s[16:17], s[16:17] op_sel:[0,1]
	global_store_dwordx4 v[36:37], v[10:13], off offset:8
.LBB0_67:                               ;   in Loop: Header=BB0_3 Depth=1
	s_or_b64 exec, exec, s[20:21]
	s_lshl_b64 s[16:17], s[18:19], 12
	v_mov_b32_e32 v7, s17
	v_add_co_u32_e32 v10, vcc, s16, v28
	v_addc_co_u32_e32 v7, vcc, v29, v7, vcc
	v_or_b32_e32 v11, 0, v1
	v_cmp_lt_u64_e32 vcc, 56, v[4:5]
	v_or_b32_e32 v28, v0, v6
	v_cndmask_b32_e32 v1, v11, v1, vcc
	v_lshl_add_u32 v11, v34, 2, 28
	v_cndmask_b32_e32 v0, v28, v0, vcc
	v_and_b32_e32 v11, 0x1e0, v11
	v_and_or_b32 v0, v0, s23, v11
	v_lshlrev_b32_e32 v11, 6, v32
	v_readfirstlane_b32 s16, v10
	v_readfirstlane_b32 s17, v7
	s_nop 4
	global_store_dwordx4 v11, v[0:3], s[16:17]
	global_store_dwordx4 v11, v[14:17], s[16:17] offset:16
	global_store_dwordx4 v11, v[18:21], s[16:17] offset:32
	;; [unrolled: 1-line block ×3, first 2 shown]
	s_and_saveexec_b64 s[16:17], s[4:5]
	s_cbranch_execz .LBB0_75
; %bb.68:                               ;   in Loop: Header=BB0_3 Depth=1
	global_load_dwordx2 v[18:19], v31, s[12:13] offset:32 glc
	global_load_dwordx2 v[0:1], v31, s[12:13] offset:40
	v_mov_b32_e32 v16, s14
	v_mov_b32_e32 v17, s15
	s_waitcnt vmcnt(0)
	v_readfirstlane_b32 s18, v0
	v_readfirstlane_b32 s19, v1
	s_and_b64 s[18:19], s[18:19], s[14:15]
	s_mul_i32 s19, s19, 24
	s_mul_hi_u32 s20, s18, 24
	s_mul_i32 s18, s18, 24
	s_add_i32 s19, s20, s19
	v_mov_b32_e32 v0, s19
	v_add_co_u32_e32 v14, vcc, s18, v26
	v_addc_co_u32_e32 v15, vcc, v27, v0, vcc
	global_store_dwordx2 v[14:15], v[18:19], off
	buffer_wbl2
	s_waitcnt vmcnt(0)
	global_atomic_cmpswap_x2 v[2:3], v31, v[16:19], s[12:13] offset:32 glc
	s_waitcnt vmcnt(0)
	v_cmp_ne_u64_e32 vcc, v[2:3], v[18:19]
	s_and_saveexec_b64 s[18:19], vcc
	s_cbranch_execz .LBB0_71
; %bb.69:                               ;   in Loop: Header=BB0_3 Depth=1
	s_mov_b64 s[20:21], 0
.LBB0_70:                               ;   Parent Loop BB0_3 Depth=1
                                        ; =>  This Inner Loop Header: Depth=2
	s_sleep 1
	global_store_dwordx2 v[14:15], v[2:3], off
	v_mov_b32_e32 v0, s14
	v_mov_b32_e32 v1, s15
	buffer_wbl2
	s_waitcnt vmcnt(0)
	global_atomic_cmpswap_x2 v[0:1], v31, v[0:3], s[12:13] offset:32 glc
	s_waitcnt vmcnt(0)
	v_cmp_eq_u64_e32 vcc, v[0:1], v[2:3]
	s_or_b64 s[20:21], vcc, s[20:21]
	v_pk_mov_b32 v[2:3], v[0:1], v[0:1] op_sel:[0,1]
	s_andn2_b64 exec, exec, s[20:21]
	s_cbranch_execnz .LBB0_70
.LBB0_71:                               ;   in Loop: Header=BB0_3 Depth=1
	s_or_b64 exec, exec, s[18:19]
	global_load_dwordx2 v[0:1], v31, s[12:13] offset:16
	s_mov_b64 s[20:21], exec
	v_mbcnt_lo_u32_b32 v2, s20, 0
	v_mbcnt_hi_u32_b32 v2, s21, v2
	v_cmp_eq_u32_e32 vcc, 0, v2
	s_and_saveexec_b64 s[18:19], vcc
	s_cbranch_execz .LBB0_73
; %bb.72:                               ;   in Loop: Header=BB0_3 Depth=1
	s_bcnt1_i32_b64 s20, s[20:21]
	v_mov_b32_e32 v30, s20
	buffer_wbl2
	s_waitcnt vmcnt(0)
	global_atomic_add_x2 v[0:1], v[30:31], off offset:8
.LBB0_73:                               ;   in Loop: Header=BB0_3 Depth=1
	s_or_b64 exec, exec, s[18:19]
	s_waitcnt vmcnt(0)
	global_load_dwordx2 v[2:3], v[0:1], off offset:16
	s_waitcnt vmcnt(0)
	v_cmp_eq_u64_e32 vcc, 0, v[2:3]
	s_cbranch_vccnz .LBB0_75
; %bb.74:                               ;   in Loop: Header=BB0_3 Depth=1
	global_load_dword v30, v[0:1], off offset:24
	s_waitcnt vmcnt(0)
	v_and_b32_e32 v0, 0xffffff, v30
	v_readfirstlane_b32 m0, v0
	buffer_wbl2
	global_store_dwordx2 v[2:3], v[30:31], off
	s_sendmsg sendmsg(MSG_INTERRUPT)
.LBB0_75:                               ;   in Loop: Header=BB0_3 Depth=1
	s_or_b64 exec, exec, s[16:17]
	v_add_co_u32_e32 v0, vcc, v10, v11
	v_addc_co_u32_e32 v1, vcc, 0, v7, vcc
	s_branch .LBB0_79
.LBB0_76:                               ;   in Loop: Header=BB0_79 Depth=2
	s_or_b64 exec, exec, s[16:17]
	v_readfirstlane_b32 s16, v2
	s_cmp_eq_u32 s16, 0
	s_cbranch_scc1 .LBB0_78
; %bb.77:                               ;   in Loop: Header=BB0_79 Depth=2
	s_sleep 1
	s_cbranch_execnz .LBB0_79
	s_branch .LBB0_81
.LBB0_78:                               ;   in Loop: Header=BB0_3 Depth=1
	s_branch .LBB0_81
.LBB0_79:                               ;   Parent Loop BB0_3 Depth=1
                                        ; =>  This Inner Loop Header: Depth=2
	v_mov_b32_e32 v2, 1
	s_and_saveexec_b64 s[16:17], s[4:5]
	s_cbranch_execz .LBB0_76
; %bb.80:                               ;   in Loop: Header=BB0_79 Depth=2
	global_load_dword v2, v[36:37], off offset:20 glc
	s_waitcnt vmcnt(0)
	buffer_invl2
	buffer_wbinvl1_vol
	v_and_b32_e32 v2, 1, v2
	s_branch .LBB0_76
.LBB0_81:                               ;   in Loop: Header=BB0_3 Depth=1
	global_load_dwordx4 v[0:3], v[0:1], off
	s_and_saveexec_b64 s[16:17], s[4:5]
	s_cbranch_execz .LBB0_2
; %bb.82:                               ;   in Loop: Header=BB0_3 Depth=1
	global_load_dwordx2 v[2:3], v31, s[12:13] offset:40
	global_load_dwordx2 v[10:11], v31, s[12:13] offset:24 glc
	global_load_dwordx2 v[18:19], v31, s[12:13]
	v_mov_b32_e32 v7, s15
	s_waitcnt vmcnt(2)
	v_add_co_u32_e32 v17, vcc, 1, v2
	v_addc_co_u32_e32 v20, vcc, 0, v3, vcc
	v_add_co_u32_e32 v14, vcc, s14, v17
	v_addc_co_u32_e32 v15, vcc, v20, v7, vcc
	v_cmp_eq_u64_e32 vcc, 0, v[14:15]
	v_cndmask_b32_e32 v15, v15, v20, vcc
	v_cndmask_b32_e32 v14, v14, v17, vcc
	v_and_b32_e32 v3, v15, v3
	v_and_b32_e32 v2, v14, v2
	v_mul_lo_u32 v3, v3, 24
	v_mul_hi_u32 v7, v2, 24
	v_mul_lo_u32 v2, v2, 24
	v_add_u32_e32 v3, v7, v3
	s_waitcnt vmcnt(0)
	v_add_co_u32_e32 v2, vcc, v18, v2
	v_addc_co_u32_e32 v3, vcc, v19, v3, vcc
	v_mov_b32_e32 v16, v10
	global_store_dwordx2 v[2:3], v[10:11], off
	v_mov_b32_e32 v17, v11
	buffer_wbl2
	s_waitcnt vmcnt(0)
	global_atomic_cmpswap_x2 v[16:17], v31, v[14:17], s[12:13] offset:24 glc
	s_waitcnt vmcnt(0)
	v_cmp_ne_u64_e32 vcc, v[16:17], v[10:11]
	s_and_b64 exec, exec, vcc
	s_cbranch_execz .LBB0_2
; %bb.83:                               ;   in Loop: Header=BB0_3 Depth=1
	s_mov_b64 s[4:5], 0
.LBB0_84:                               ;   Parent Loop BB0_3 Depth=1
                                        ; =>  This Inner Loop Header: Depth=2
	s_sleep 1
	global_store_dwordx2 v[2:3], v[16:17], off
	buffer_wbl2
	s_waitcnt vmcnt(0)
	global_atomic_cmpswap_x2 v[10:11], v31, v[14:17], s[12:13] offset:24 glc
	s_waitcnt vmcnt(0)
	v_cmp_eq_u64_e32 vcc, v[10:11], v[16:17]
	s_or_b64 s[4:5], vcc, s[4:5]
	v_pk_mov_b32 v[16:17], v[10:11], v[10:11] op_sel:[0,1]
	s_andn2_b64 exec, exec, s[4:5]
	s_cbranch_execnz .LBB0_84
	s_branch .LBB0_2
.LBB0_85:
	s_or_b64 exec, exec, s[6:7]
                                        ; implicit-def: $vgpr0
                                        ; implicit-def: $vgpr1
                                        ; implicit-def: $vgpr2
.LBB0_86:
	s_andn2_saveexec_b64 s[6:7], s[10:11]
	s_cbranch_execz .LBB0_109
; %bb.87:
	s_load_dwordx2 s[8:9], s[8:9], 0x50
	s_waitcnt vmcnt(0)
	v_mbcnt_hi_u32_b32 v3, -1, v2
	v_readfirstlane_b32 s4, v3
	v_cmp_eq_u32_e64 s[4:5], s4, v3
	v_pk_mov_b32 v[8:9], 0, 0
	s_and_saveexec_b64 s[10:11], s[4:5]
	s_cbranch_execz .LBB0_93
; %bb.88:
	v_mov_b32_e32 v2, 0
	s_waitcnt lgkmcnt(0)
	global_load_dwordx2 v[6:7], v2, s[8:9] offset:24 glc
	s_waitcnt vmcnt(0)
	buffer_invl2
	buffer_wbinvl1_vol
	global_load_dwordx2 v[4:5], v2, s[8:9] offset:40
	global_load_dwordx2 v[8:9], v2, s[8:9]
	s_waitcnt vmcnt(1)
	v_and_b32_e32 v4, v4, v6
	v_and_b32_e32 v5, v5, v7
	v_mul_lo_u32 v5, v5, 24
	v_mul_hi_u32 v10, v4, 24
	v_mul_lo_u32 v4, v4, 24
	v_add_u32_e32 v5, v10, v5
	s_waitcnt vmcnt(0)
	v_add_co_u32_e32 v4, vcc, v8, v4
	v_addc_co_u32_e32 v5, vcc, v9, v5, vcc
	global_load_dwordx2 v[4:5], v[4:5], off glc
	s_waitcnt vmcnt(0)
	global_atomic_cmpswap_x2 v[8:9], v2, v[4:7], s[8:9] offset:24 glc
	s_waitcnt vmcnt(0)
	buffer_invl2
	buffer_wbinvl1_vol
	v_cmp_ne_u64_e32 vcc, v[8:9], v[6:7]
	s_and_saveexec_b64 s[12:13], vcc
	s_cbranch_execz .LBB0_92
; %bb.89:
	s_mov_b64 s[14:15], 0
.LBB0_90:                               ; =>This Inner Loop Header: Depth=1
	s_sleep 1
	global_load_dwordx2 v[4:5], v2, s[8:9] offset:40
	global_load_dwordx2 v[10:11], v2, s[8:9]
	v_pk_mov_b32 v[6:7], v[8:9], v[8:9] op_sel:[0,1]
	s_waitcnt vmcnt(1)
	v_and_b32_e32 v4, v4, v6
	v_and_b32_e32 v9, v5, v7
	s_waitcnt vmcnt(0)
	v_mad_u64_u32 v[4:5], s[16:17], v4, 24, v[10:11]
	v_mov_b32_e32 v8, v5
	v_mad_u64_u32 v[8:9], s[16:17], v9, 24, v[8:9]
	v_mov_b32_e32 v5, v8
	global_load_dwordx2 v[4:5], v[4:5], off glc
	s_waitcnt vmcnt(0)
	global_atomic_cmpswap_x2 v[8:9], v2, v[4:7], s[8:9] offset:24 glc
	s_waitcnt vmcnt(0)
	buffer_invl2
	buffer_wbinvl1_vol
	v_cmp_eq_u64_e32 vcc, v[8:9], v[6:7]
	s_or_b64 s[14:15], vcc, s[14:15]
	s_andn2_b64 exec, exec, s[14:15]
	s_cbranch_execnz .LBB0_90
; %bb.91:
	s_or_b64 exec, exec, s[14:15]
.LBB0_92:
	s_or_b64 exec, exec, s[12:13]
.LBB0_93:
	s_or_b64 exec, exec, s[10:11]
	v_mov_b32_e32 v2, 0
	s_waitcnt lgkmcnt(0)
	global_load_dwordx2 v[10:11], v2, s[8:9] offset:40
	global_load_dwordx4 v[4:7], v2, s[8:9]
	v_readfirstlane_b32 s10, v8
	v_readfirstlane_b32 s11, v9
	s_mov_b64 s[12:13], exec
	s_waitcnt vmcnt(1)
	v_readfirstlane_b32 s14, v10
	v_readfirstlane_b32 s15, v11
	s_and_b64 s[14:15], s[10:11], s[14:15]
	s_mul_i32 s16, s15, 24
	s_mul_hi_u32 s17, s14, 24
	s_mul_i32 s18, s14, 24
	s_add_i32 s16, s17, s16
	v_mov_b32_e32 v9, s16
	s_waitcnt vmcnt(0)
	v_add_co_u32_e32 v8, vcc, s18, v4
	v_addc_co_u32_e32 v9, vcc, v5, v9, vcc
	s_and_saveexec_b64 s[16:17], s[4:5]
	s_cbranch_execz .LBB0_95
; %bb.94:
	v_pk_mov_b32 v[10:11], s[12:13], s[12:13] op_sel:[0,1]
	v_mov_b32_e32 v12, 2
	v_mov_b32_e32 v13, 1
	global_store_dwordx4 v[8:9], v[10:13], off offset:8
.LBB0_95:
	s_or_b64 exec, exec, s[16:17]
	s_lshl_b64 s[12:13], s[14:15], 12
	v_mov_b32_e32 v10, s13
	v_add_co_u32_e32 v6, vcc, s12, v6
	s_movk_i32 s12, 0xff1f
	v_addc_co_u32_e32 v7, vcc, v7, v10, vcc
	v_and_or_b32 v0, v0, s12, 32
	s_mov_b32 s12, 0
	v_lshlrev_b32_e32 v10, 6, v3
	v_mov_b32_e32 v3, v2
	v_readfirstlane_b32 s16, v6
	v_readfirstlane_b32 s17, v7
	s_mov_b32 s13, s12
	s_mov_b32 s14, s12
	;; [unrolled: 1-line block ×3, first 2 shown]
	s_nop 1
	global_store_dwordx4 v10, v[0:3], s[16:17]
	s_nop 0
	v_pk_mov_b32 v[0:1], s[12:13], s[12:13] op_sel:[0,1]
	v_pk_mov_b32 v[2:3], s[14:15], s[14:15] op_sel:[0,1]
	global_store_dwordx4 v10, v[0:3], s[16:17] offset:16
	global_store_dwordx4 v10, v[0:3], s[16:17] offset:32
	;; [unrolled: 1-line block ×3, first 2 shown]
	s_and_saveexec_b64 s[12:13], s[4:5]
	s_cbranch_execz .LBB0_103
; %bb.96:
	v_mov_b32_e32 v6, 0
	global_load_dwordx2 v[12:13], v6, s[8:9] offset:32 glc
	global_load_dwordx2 v[0:1], v6, s[8:9] offset:40
	v_mov_b32_e32 v10, s10
	v_mov_b32_e32 v11, s11
	s_waitcnt vmcnt(0)
	v_and_b32_e32 v0, s10, v0
	v_and_b32_e32 v1, s11, v1
	v_mul_lo_u32 v1, v1, 24
	v_mul_hi_u32 v2, v0, 24
	v_mul_lo_u32 v0, v0, 24
	v_add_u32_e32 v1, v2, v1
	v_add_co_u32_e32 v4, vcc, v4, v0
	v_addc_co_u32_e32 v5, vcc, v5, v1, vcc
	global_store_dwordx2 v[4:5], v[12:13], off
	buffer_wbl2
	s_waitcnt vmcnt(0)
	global_atomic_cmpswap_x2 v[2:3], v6, v[10:13], s[8:9] offset:32 glc
	s_waitcnt vmcnt(0)
	v_cmp_ne_u64_e32 vcc, v[2:3], v[12:13]
	s_and_saveexec_b64 s[14:15], vcc
	s_cbranch_execz .LBB0_99
; %bb.97:
	s_mov_b64 s[16:17], 0
.LBB0_98:                               ; =>This Inner Loop Header: Depth=1
	s_sleep 1
	global_store_dwordx2 v[4:5], v[2:3], off
	v_mov_b32_e32 v0, s10
	v_mov_b32_e32 v1, s11
	buffer_wbl2
	s_waitcnt vmcnt(0)
	global_atomic_cmpswap_x2 v[0:1], v6, v[0:3], s[8:9] offset:32 glc
	s_waitcnt vmcnt(0)
	v_cmp_eq_u64_e32 vcc, v[0:1], v[2:3]
	s_or_b64 s[16:17], vcc, s[16:17]
	v_pk_mov_b32 v[2:3], v[0:1], v[0:1] op_sel:[0,1]
	s_andn2_b64 exec, exec, s[16:17]
	s_cbranch_execnz .LBB0_98
.LBB0_99:
	s_or_b64 exec, exec, s[14:15]
	v_mov_b32_e32 v3, 0
	global_load_dwordx2 v[0:1], v3, s[8:9] offset:16
	s_mov_b64 s[14:15], exec
	v_mbcnt_lo_u32_b32 v2, s14, 0
	v_mbcnt_hi_u32_b32 v2, s15, v2
	v_cmp_eq_u32_e32 vcc, 0, v2
	s_and_saveexec_b64 s[16:17], vcc
	s_cbranch_execz .LBB0_101
; %bb.100:
	s_bcnt1_i32_b64 s14, s[14:15]
	v_mov_b32_e32 v2, s14
	buffer_wbl2
	s_waitcnt vmcnt(0)
	global_atomic_add_x2 v[0:1], v[2:3], off offset:8
.LBB0_101:
	s_or_b64 exec, exec, s[16:17]
	s_waitcnt vmcnt(0)
	global_load_dwordx2 v[2:3], v[0:1], off offset:16
	s_waitcnt vmcnt(0)
	v_cmp_eq_u64_e32 vcc, 0, v[2:3]
	s_cbranch_vccnz .LBB0_103
; %bb.102:
	global_load_dword v0, v[0:1], off offset:24
	v_mov_b32_e32 v1, 0
	buffer_wbl2
	s_waitcnt vmcnt(0)
	global_store_dwordx2 v[2:3], v[0:1], off
	v_and_b32_e32 v0, 0xffffff, v0
	v_readfirstlane_b32 m0, v0
	s_sendmsg sendmsg(MSG_INTERRUPT)
.LBB0_103:
	s_or_b64 exec, exec, s[12:13]
	s_branch .LBB0_107
.LBB0_104:                              ;   in Loop: Header=BB0_107 Depth=1
	s_or_b64 exec, exec, s[12:13]
	v_readfirstlane_b32 s12, v0
	s_cmp_eq_u32 s12, 0
	s_cbranch_scc1 .LBB0_106
; %bb.105:                              ;   in Loop: Header=BB0_107 Depth=1
	s_sleep 1
	s_cbranch_execnz .LBB0_107
	s_branch .LBB0_110
.LBB0_106:
	s_branch .LBB0_110
.LBB0_107:                              ; =>This Inner Loop Header: Depth=1
	v_mov_b32_e32 v0, 1
	s_and_saveexec_b64 s[12:13], s[4:5]
	s_cbranch_execz .LBB0_104
; %bb.108:                              ;   in Loop: Header=BB0_107 Depth=1
	global_load_dword v0, v[8:9], off offset:20 glc
	s_waitcnt vmcnt(0)
	buffer_invl2
	buffer_wbinvl1_vol
	v_and_b32_e32 v0, 1, v0
	s_branch .LBB0_104
.LBB0_109:
	s_or_b64 exec, exec, s[6:7]
	s_waitcnt vmcnt(0) lgkmcnt(0)
	s_setpc_b64 s[30:31]
.LBB0_110:
	s_and_saveexec_b64 s[12:13], s[4:5]
	s_cbranch_execz .LBB0_113
; %bb.111:
	v_mov_b32_e32 v6, 0
	global_load_dwordx2 v[4:5], v6, s[8:9] offset:40
	global_load_dwordx2 v[8:9], v6, s[8:9] offset:24 glc
	global_load_dwordx2 v[10:11], v6, s[8:9]
	v_mov_b32_e32 v1, s11
	s_mov_b64 s[4:5], 0
	s_waitcnt vmcnt(2)
	v_add_co_u32_e32 v3, vcc, 1, v4
	v_addc_co_u32_e32 v7, vcc, 0, v5, vcc
	v_add_co_u32_e32 v0, vcc, s10, v3
	v_addc_co_u32_e32 v1, vcc, v7, v1, vcc
	v_cmp_eq_u64_e32 vcc, 0, v[0:1]
	v_cndmask_b32_e32 v1, v1, v7, vcc
	v_cndmask_b32_e32 v0, v0, v3, vcc
	v_and_b32_e32 v3, v1, v5
	v_and_b32_e32 v4, v0, v4
	v_mul_lo_u32 v3, v3, 24
	v_mul_hi_u32 v5, v4, 24
	v_mul_lo_u32 v4, v4, 24
	v_add_u32_e32 v3, v5, v3
	s_waitcnt vmcnt(0)
	v_add_co_u32_e32 v4, vcc, v10, v4
	v_addc_co_u32_e32 v5, vcc, v11, v3, vcc
	v_mov_b32_e32 v2, v8
	global_store_dwordx2 v[4:5], v[8:9], off
	v_mov_b32_e32 v3, v9
	buffer_wbl2
	s_waitcnt vmcnt(0)
	global_atomic_cmpswap_x2 v[2:3], v6, v[0:3], s[8:9] offset:24 glc
	s_waitcnt vmcnt(0)
	v_cmp_ne_u64_e32 vcc, v[2:3], v[8:9]
	s_and_b64 exec, exec, vcc
	s_cbranch_execz .LBB0_113
.LBB0_112:                              ; =>This Inner Loop Header: Depth=1
	s_sleep 1
	global_store_dwordx2 v[4:5], v[2:3], off
	buffer_wbl2
	s_waitcnt vmcnt(0)
	global_atomic_cmpswap_x2 v[8:9], v6, v[0:3], s[8:9] offset:24 glc
	s_waitcnt vmcnt(0)
	v_cmp_eq_u64_e32 vcc, v[8:9], v[2:3]
	s_or_b64 s[4:5], vcc, s[4:5]
	v_pk_mov_b32 v[2:3], v[8:9], v[8:9] op_sel:[0,1]
	s_andn2_b64 exec, exec, s[4:5]
	s_cbranch_execnz .LBB0_112
.LBB0_113:
	s_or_b64 exec, exec, s[12:13]
	s_or_b64 exec, exec, s[6:7]
	s_waitcnt vmcnt(0) lgkmcnt(0)
	s_setpc_b64 s[30:31]
.Lfunc_end0:
	.size	__ockl_fprintf_append_string_n, .Lfunc_end0-__ockl_fprintf_append_string_n
                                        ; -- End function
	.section	.AMDGPU.csdata,"",@progbits
; Function info:
; codeLenInByte = 4372
; NumSgprs: 36
; NumVgprs: 38
; NumAgprs: 0
; TotalNumVgprs: 38
; ScratchSize: 0
; MemoryBound: 0
	.text
	.p2align	2                               ; -- Begin function __assert_fail
	.type	__assert_fail,@function
__assert_fail:                          ; @__assert_fail
; %bb.0:
	s_waitcnt vmcnt(0) expcnt(0) lgkmcnt(0)
	s_mov_b32 s25, s33
	s_mov_b32 s33, s32
	s_or_saveexec_b64 s[4:5], -1
	buffer_store_dword v40, off, s[0:3], s33 offset:48 ; 4-byte Folded Spill
	s_mov_b64 exec, s[4:5]
	v_writelane_b32 v40, s30, 0
	s_addk_i32 s32, 0x1000
	v_writelane_b32 v40, s31, 1
	s_getpc_b64 s[4:5]
	s_add_u32 s4, s4, __const.__assert_fail.fmt@rel32@lo+4
	s_addc_u32 s5, s5, __const.__assert_fail.fmt@rel32@hi+12
	s_load_dwordx4 s[4:7], s[4:5], 0x0
	v_mov_b32_e32 v4, v0
	v_mov_b32_e32 v0, 0xa2e
	buffer_store_short v0, off, s[0:3], s33 offset:44
	v_mov_b32_e32 v0, 0x64656c69
	buffer_store_dword v0, off, s[0:3], s33 offset:40
	v_mov_b32_e32 v0, 0x61662027
	s_getpc_b64 s[10:11]
	s_add_u32 s10, s10, __const.__assert_fail.fmt@rel32@lo+20
	s_addc_u32 s11, s11, __const.__assert_fail.fmt@rel32@hi+28
	buffer_store_dword v0, off, s[0:3], s33 offset:36
	v_mov_b32_e32 v0, 0x73256020
	s_load_dwordx4 s[12:15], s[10:11], 0x0
	buffer_store_dword v0, off, s[0:3], s33 offset:32
	s_waitcnt lgkmcnt(0)
	v_mov_b32_e32 v0, s7
	buffer_store_dword v0, off, s[0:3], s33 offset:12
	v_mov_b32_e32 v0, s6
	buffer_store_dword v0, off, s[0:3], s33 offset:8
	v_mov_b32_e32 v0, s5
	buffer_store_dword v0, off, s[0:3], s33 offset:4
	v_mov_b32_e32 v0, s4
	buffer_store_dword v0, off, s[0:3], s33
	v_mov_b32_e32 v0, s15
	buffer_store_dword v0, off, s[0:3], s33 offset:28
	v_mov_b32_e32 v0, s14
	buffer_store_dword v0, off, s[0:3], s33 offset:24
	;; [unrolled: 2-line block ×3, first 2 shown]
	v_mov_b32_e32 v0, s12
	s_load_dwordx2 s[10:11], s[8:9], 0x50
	buffer_store_dword v0, off, s[0:3], s33 offset:16
	v_mbcnt_lo_u32_b32 v0, -1, 0
	v_mbcnt_hi_u32_b32 v37, -1, v0
	v_readfirstlane_b32 s4, v37
	v_mov_b32_e32 v5, v1
	v_mov_b32_e32 v8, 0
	v_cmp_eq_u32_e64 s[4:5], s4, v37
	v_pk_mov_b32 v[6:7], 0, 0
	buffer_store_byte v8, off, s[0:3], s33 offset:46
	s_and_saveexec_b64 s[6:7], s[4:5]
	s_cbranch_execz .LBB1_6
; %bb.1:
	s_waitcnt lgkmcnt(0)
	global_load_dwordx2 v[2:3], v8, s[10:11] offset:24 glc
	s_waitcnt vmcnt(0)
	buffer_invl2
	buffer_wbinvl1_vol
	global_load_dwordx2 v[0:1], v8, s[10:11] offset:40
	global_load_dwordx2 v[6:7], v8, s[10:11]
	s_waitcnt vmcnt(1)
	v_and_b32_e32 v0, v0, v2
	v_and_b32_e32 v1, v1, v3
	v_mul_lo_u32 v1, v1, 24
	v_mul_hi_u32 v9, v0, 24
	v_mul_lo_u32 v0, v0, 24
	v_add_u32_e32 v1, v9, v1
	s_waitcnt vmcnt(0)
	v_add_co_u32_e32 v0, vcc, v6, v0
	v_addc_co_u32_e32 v1, vcc, v7, v1, vcc
	global_load_dwordx2 v[0:1], v[0:1], off glc
	s_waitcnt vmcnt(0)
	global_atomic_cmpswap_x2 v[6:7], v8, v[0:3], s[10:11] offset:24 glc
	s_waitcnt vmcnt(0)
	buffer_invl2
	buffer_wbinvl1_vol
	v_cmp_ne_u64_e32 vcc, v[6:7], v[2:3]
	s_and_saveexec_b64 s[12:13], vcc
	s_cbranch_execz .LBB1_5
; %bb.2:
	s_mov_b64 s[14:15], 0
.LBB1_3:                                ; =>This Inner Loop Header: Depth=1
	s_sleep 1
	global_load_dwordx2 v[0:1], v8, s[10:11] offset:40
	global_load_dwordx2 v[10:11], v8, s[10:11]
	v_pk_mov_b32 v[2:3], v[6:7], v[6:7] op_sel:[0,1]
	s_waitcnt vmcnt(1)
	v_and_b32_e32 v0, v0, v2
	v_and_b32_e32 v7, v1, v3
	s_waitcnt vmcnt(0)
	v_mad_u64_u32 v[0:1], s[16:17], v0, 24, v[10:11]
	v_mov_b32_e32 v6, v1
	v_mad_u64_u32 v[6:7], s[16:17], v7, 24, v[6:7]
	v_mov_b32_e32 v1, v6
	global_load_dwordx2 v[0:1], v[0:1], off glc
	s_waitcnt vmcnt(0)
	global_atomic_cmpswap_x2 v[6:7], v8, v[0:3], s[10:11] offset:24 glc
	s_waitcnt vmcnt(0)
	buffer_invl2
	buffer_wbinvl1_vol
	v_cmp_eq_u64_e32 vcc, v[6:7], v[2:3]
	s_or_b64 s[14:15], vcc, s[14:15]
	s_andn2_b64 exec, exec, s[14:15]
	s_cbranch_execnz .LBB1_3
; %bb.4:
	s_or_b64 exec, exec, s[14:15]
.LBB1_5:
	s_or_b64 exec, exec, s[12:13]
.LBB1_6:
	s_or_b64 exec, exec, s[6:7]
	s_waitcnt lgkmcnt(0)
	global_load_dwordx2 v[10:11], v8, s[10:11] offset:40
	global_load_dwordx4 v[0:3], v8, s[10:11]
	v_readfirstlane_b32 s6, v6
	v_readfirstlane_b32 s7, v7
	s_mov_b64 s[12:13], exec
	s_waitcnt vmcnt(1)
	v_readfirstlane_b32 s14, v10
	v_readfirstlane_b32 s15, v11
	s_and_b64 s[14:15], s[6:7], s[14:15]
	s_mul_i32 s16, s15, 24
	s_mul_hi_u32 s17, s14, 24
	s_mul_i32 s18, s14, 24
	s_add_i32 s16, s17, s16
	v_mov_b32_e32 v6, s16
	s_waitcnt vmcnt(0)
	v_add_co_u32_e32 v10, vcc, s18, v0
	v_addc_co_u32_e32 v11, vcc, v1, v6, vcc
	s_and_saveexec_b64 s[16:17], s[4:5]
	s_cbranch_execz .LBB1_8
; %bb.7:
	v_pk_mov_b32 v[6:7], s[12:13], s[12:13] op_sel:[0,1]
	v_mov_b32_e32 v8, 2
	v_mov_b32_e32 v9, 1
	global_store_dwordx4 v[10:11], v[6:9], off offset:8
.LBB1_8:
	s_or_b64 exec, exec, s[16:17]
	s_lshl_b64 s[12:13], s[14:15], 12
	v_mov_b32_e32 v6, s13
	v_add_co_u32_e32 v2, vcc, s12, v2
	s_mov_b32 s12, 0
	v_addc_co_u32_e32 v3, vcc, v3, v6, vcc
	v_lshlrev_b32_e32 v36, 6, v37
	s_mov_b32 s14, s12
	s_mov_b32 s15, s12
	v_mov_b32_e32 v7, 0
	v_add_co_u32_e32 v12, vcc, v2, v36
	s_mov_b32 s13, s12
	v_pk_mov_b32 v[16:17], s[14:15], s[14:15] op_sel:[0,1]
	v_addc_co_u32_e32 v13, vcc, 0, v3, vcc
	v_mov_b32_e32 v6, 33
	v_mov_b32_e32 v8, 1
	;; [unrolled: 1-line block ×3, first 2 shown]
	v_readfirstlane_b32 s16, v2
	v_readfirstlane_b32 s17, v3
	v_pk_mov_b32 v[14:15], s[12:13], s[12:13] op_sel:[0,1]
	s_nop 3
	global_store_dwordx4 v36, v[6:9], s[16:17]
	global_store_dwordx4 v36, v[14:17], s[16:17] offset:16
	global_store_dwordx4 v36, v[14:17], s[16:17] offset:32
	global_store_dwordx4 v36, v[14:17], s[16:17] offset:48
	s_and_saveexec_b64 s[12:13], s[4:5]
	s_cbranch_execz .LBB1_16
; %bb.9:
	global_load_dwordx2 v[16:17], v7, s[10:11] offset:32 glc
	global_load_dwordx2 v[2:3], v7, s[10:11] offset:40
	v_mov_b32_e32 v14, s6
	v_mov_b32_e32 v15, s7
	s_waitcnt vmcnt(0)
	v_and_b32_e32 v2, s6, v2
	v_and_b32_e32 v3, s7, v3
	v_mul_lo_u32 v3, v3, 24
	v_mul_hi_u32 v6, v2, 24
	v_mul_lo_u32 v2, v2, 24
	v_add_u32_e32 v3, v6, v3
	v_add_co_u32_e32 v8, vcc, v0, v2
	v_addc_co_u32_e32 v9, vcc, v1, v3, vcc
	global_store_dwordx2 v[8:9], v[16:17], off
	buffer_wbl2
	s_waitcnt vmcnt(0)
	global_atomic_cmpswap_x2 v[2:3], v7, v[14:17], s[10:11] offset:32 glc
	s_waitcnt vmcnt(0)
	v_cmp_ne_u64_e32 vcc, v[2:3], v[16:17]
	s_and_saveexec_b64 s[14:15], vcc
	s_cbranch_execz .LBB1_12
; %bb.10:
	s_mov_b64 s[16:17], 0
.LBB1_11:                               ; =>This Inner Loop Header: Depth=1
	s_sleep 1
	global_store_dwordx2 v[8:9], v[2:3], off
	v_mov_b32_e32 v0, s6
	v_mov_b32_e32 v1, s7
	buffer_wbl2
	s_waitcnt vmcnt(0)
	global_atomic_cmpswap_x2 v[0:1], v7, v[0:3], s[10:11] offset:32 glc
	s_waitcnt vmcnt(0)
	v_cmp_eq_u64_e32 vcc, v[0:1], v[2:3]
	s_or_b64 s[16:17], vcc, s[16:17]
	v_pk_mov_b32 v[2:3], v[0:1], v[0:1] op_sel:[0,1]
	s_andn2_b64 exec, exec, s[16:17]
	s_cbranch_execnz .LBB1_11
.LBB1_12:
	s_or_b64 exec, exec, s[14:15]
	v_mov_b32_e32 v3, 0
	global_load_dwordx2 v[0:1], v3, s[10:11] offset:16
	s_mov_b64 s[14:15], exec
	v_mbcnt_lo_u32_b32 v2, s14, 0
	v_mbcnt_hi_u32_b32 v2, s15, v2
	v_cmp_eq_u32_e32 vcc, 0, v2
	s_and_saveexec_b64 s[16:17], vcc
	s_cbranch_execz .LBB1_14
; %bb.13:
	s_bcnt1_i32_b64 s14, s[14:15]
	v_mov_b32_e32 v2, s14
	buffer_wbl2
	s_waitcnt vmcnt(0)
	global_atomic_add_x2 v[0:1], v[2:3], off offset:8
.LBB1_14:
	s_or_b64 exec, exec, s[16:17]
	s_waitcnt vmcnt(0)
	global_load_dwordx2 v[2:3], v[0:1], off offset:16
	s_waitcnt vmcnt(0)
	v_cmp_eq_u64_e32 vcc, 0, v[2:3]
	s_cbranch_vccnz .LBB1_16
; %bb.15:
	global_load_dword v0, v[0:1], off offset:24
	v_mov_b32_e32 v1, 0
	buffer_wbl2
	s_waitcnt vmcnt(0)
	global_store_dwordx2 v[2:3], v[0:1], off
	v_and_b32_e32 v0, 0xffffff, v0
	v_readfirstlane_b32 m0, v0
	s_sendmsg sendmsg(MSG_INTERRUPT)
.LBB1_16:
	s_or_b64 exec, exec, s[12:13]
	s_branch .LBB1_20
.LBB1_17:                               ;   in Loop: Header=BB1_20 Depth=1
	s_or_b64 exec, exec, s[12:13]
	v_readfirstlane_b32 s12, v0
	s_cmp_eq_u32 s12, 0
	s_cbranch_scc1 .LBB1_19
; %bb.18:                               ;   in Loop: Header=BB1_20 Depth=1
	s_sleep 1
	s_cbranch_execnz .LBB1_20
	s_branch .LBB1_22
.LBB1_19:
	s_branch .LBB1_22
.LBB1_20:                               ; =>This Inner Loop Header: Depth=1
	v_mov_b32_e32 v0, 1
	s_and_saveexec_b64 s[12:13], s[4:5]
	s_cbranch_execz .LBB1_17
; %bb.21:                               ;   in Loop: Header=BB1_20 Depth=1
	global_load_dword v0, v[10:11], off offset:20 glc
	s_waitcnt vmcnt(0)
	buffer_invl2
	buffer_wbinvl1_vol
	v_and_b32_e32 v0, 1, v0
	s_branch .LBB1_17
.LBB1_22:
	global_load_dwordx2 v[6:7], v[12:13], off
	s_and_saveexec_b64 s[12:13], s[4:5]
	s_cbranch_execz .LBB1_25
; %bb.23:
	v_mov_b32_e32 v10, 0
	global_load_dwordx2 v[8:9], v10, s[10:11] offset:40
	global_load_dwordx2 v[12:13], v10, s[10:11] offset:24 glc
	global_load_dwordx2 v[14:15], v10, s[10:11]
	v_mov_b32_e32 v1, s7
	s_mov_b64 s[4:5], 0
	s_waitcnt vmcnt(2)
	v_add_co_u32_e32 v3, vcc, 1, v8
	v_addc_co_u32_e32 v11, vcc, 0, v9, vcc
	v_add_co_u32_e32 v0, vcc, s6, v3
	v_addc_co_u32_e32 v1, vcc, v11, v1, vcc
	v_cmp_eq_u64_e32 vcc, 0, v[0:1]
	v_cndmask_b32_e32 v1, v1, v11, vcc
	v_cndmask_b32_e32 v0, v0, v3, vcc
	v_and_b32_e32 v3, v1, v9
	v_and_b32_e32 v8, v0, v8
	v_mul_lo_u32 v3, v3, 24
	v_mul_hi_u32 v9, v8, 24
	v_mul_lo_u32 v8, v8, 24
	v_add_u32_e32 v3, v9, v3
	s_waitcnt vmcnt(0)
	v_add_co_u32_e32 v8, vcc, v14, v8
	v_addc_co_u32_e32 v9, vcc, v15, v3, vcc
	v_mov_b32_e32 v2, v12
	global_store_dwordx2 v[8:9], v[12:13], off
	v_mov_b32_e32 v3, v13
	buffer_wbl2
	s_waitcnt vmcnt(0)
	global_atomic_cmpswap_x2 v[2:3], v10, v[0:3], s[10:11] offset:24 glc
	s_waitcnt vmcnt(0)
	v_cmp_ne_u64_e32 vcc, v[2:3], v[12:13]
	s_and_b64 exec, exec, vcc
	s_cbranch_execz .LBB1_25
.LBB1_24:                               ; =>This Inner Loop Header: Depth=1
	s_sleep 1
	global_store_dwordx2 v[8:9], v[2:3], off
	buffer_wbl2
	s_waitcnt vmcnt(0)
	global_atomic_cmpswap_x2 v[12:13], v10, v[0:3], s[10:11] offset:24 glc
	s_waitcnt vmcnt(0)
	v_cmp_eq_u64_e32 vcc, v[12:13], v[2:3]
	s_or_b64 s[4:5], vcc, s[4:5]
	v_pk_mov_b32 v[2:3], v[12:13], v[12:13] op_sel:[0,1]
	s_andn2_b64 exec, exec, s[4:5]
	s_cbranch_execnz .LBB1_24
.LBB1_25:
	s_or_b64 exec, exec, s[12:13]
	v_lshrrev_b32_e64 v1, 6, s33
	s_mov_b64 s[4:5], 0
.LBB1_26:                               ; =>This Inner Loop Header: Depth=1
	buffer_load_ubyte v2, v1, s[0:3], 0 offen
	v_add_u32_e32 v0, 1, v1
	v_mov_b32_e32 v1, v0
	s_waitcnt vmcnt(0)
	v_cmp_eq_u16_e32 vcc, 0, v2
	s_or_b64 s[4:5], vcc, s[4:5]
	s_andn2_b64 exec, exec, s[4:5]
	s_cbranch_execnz .LBB1_26
; %bb.27:
	s_or_b64 exec, exec, s[4:5]
	v_lshrrev_b32_e64 v31, 6, s33
	v_cmp_ne_u32_e32 vcc, -1, v31
	s_cbranch_vccz .LBB1_112
; %bb.28:
	v_lshrrev_b32_e64 v1, 6, s33
	v_subrev_u32_e32 v28, v1, v0
	v_ashrrev_i32_e32 v29, 31, v28
	v_and_b32_e32 v30, 2, v6
	v_mov_b32_e32 v33, 0
	v_and_b32_e32 v0, -3, v6
	v_mov_b32_e32 v1, v7
	s_mov_b64 s[12:13], 0
	s_mov_b32 s20, 0
	s_movk_i32 s21, 0xff1f
	v_mov_b32_e32 v10, 2
	v_mov_b32_e32 v11, 1
	s_branch .LBB1_30
.LBB1_29:                               ;   in Loop: Header=BB1_30 Depth=1
	s_or_b64 exec, exec, s[6:7]
	v_sub_co_u32_e32 v28, vcc, v28, v38
	v_subb_co_u32_e32 v29, vcc, v29, v39, vcc
	v_cmp_eq_u64_e32 vcc, 0, v[28:29]
	s_or_b64 s[12:13], vcc, s[12:13]
	v_add_u32_e32 v31, v31, v38
	s_andn2_b64 exec, exec, s[12:13]
	s_cbranch_execz .LBB1_113
.LBB1_30:                               ; =>This Loop Header: Depth=1
                                        ;     Child Loop BB1_33 Depth 2
                                        ;     Child Loop BB1_41 Depth 2
	;; [unrolled: 1-line block ×11, first 2 shown]
	v_cmp_gt_u64_e32 vcc, 56, v[28:29]
	v_cndmask_b32_e32 v38, 56, v28, vcc
	v_cmp_gt_u64_e64 s[4:5], 8, v[28:29]
                                        ; implicit-def: $vgpr2_vgpr3
                                        ; implicit-def: $sgpr14
	s_and_saveexec_b64 s[6:7], s[4:5]
	s_xor_b64 s[6:7], exec, s[6:7]
	s_cbranch_execz .LBB1_36
; %bb.31:                               ;   in Loop: Header=BB1_30 Depth=1
	s_mov_b64 s[16:17], 0
	v_cmp_ne_u64_e64 s[4:5], 0, v[28:29]
	s_waitcnt vmcnt(0)
	v_pk_mov_b32 v[2:3], 0, 0
	s_and_saveexec_b64 s[14:15], s[4:5]
	s_cbranch_execz .LBB1_35
; %bb.32:                               ;   in Loop: Header=BB1_30 Depth=1
	s_mov_b32 s22, 0
	v_pk_mov_b32 v[2:3], 0, 0
	s_mov_b64 s[18:19], 0
.LBB1_33:                               ;   Parent Loop BB1_30 Depth=1
                                        ; =>  This Inner Loop Header: Depth=2
	v_add_u32_e32 v8, s22, v31
	buffer_load_ubyte v8, v8, s[0:3], 0 offen
	v_mov_b32_e32 v9, s20
	s_add_i32 s22, s22, 1
	v_cmp_eq_u32_e64 s[4:5], s22, v38
	s_waitcnt vmcnt(0)
	v_and_b32_e32 v8, 0xffff, v8
	v_lshlrev_b64 v[8:9], s18, v[8:9]
	s_add_u32 s18, s18, 8
	s_addc_u32 s19, s19, 0
	v_or_b32_e32 v3, v9, v3
	s_or_b64 s[16:17], s[4:5], s[16:17]
	v_or_b32_e32 v2, v8, v2
	s_andn2_b64 exec, exec, s[16:17]
	s_cbranch_execnz .LBB1_33
; %bb.34:                               ;   in Loop: Header=BB1_30 Depth=1
	s_or_b64 exec, exec, s[16:17]
.LBB1_35:                               ;   in Loop: Header=BB1_30 Depth=1
	s_or_b64 exec, exec, s[14:15]
	s_mov_b32 s14, 0
.LBB1_36:                               ;   in Loop: Header=BB1_30 Depth=1
	s_or_saveexec_b64 s[4:5], s[6:7]
	v_mov_b32_e32 v9, s14
	v_mov_b32_e32 v8, v31
	s_xor_b64 exec, exec, s[4:5]
	s_cbranch_execz .LBB1_38
; %bb.37:                               ;   in Loop: Header=BB1_30 Depth=1
	buffer_load_dword v2, v31, s[0:3], 0 offen offset:4
	buffer_load_dword v3, v31, s[0:3], 0 offen
	v_add_u32_e32 v9, -8, v38
	s_waitcnt vmcnt(1)
	v_and_b32_e32 v8, 0xff, v2
	v_and_b32_e32 v12, 0xff00, v2
	s_waitcnt vmcnt(0)
	v_or3_b32 v3, v3, 0, 0
	v_and_b32_e32 v13, 0xff0000, v2
	v_and_b32_e32 v14, 0xff000000, v2
	v_or3_b32 v8, 0, v8, v12
	v_or3_b32 v2, v3, 0, 0
	;; [unrolled: 1-line block ×3, first 2 shown]
	v_add_u32_e32 v8, 8, v31
.LBB1_38:                               ;   in Loop: Header=BB1_30 Depth=1
	s_or_b64 exec, exec, s[4:5]
	v_cmp_gt_u32_e64 s[4:5], 8, v9
                                        ; implicit-def: $vgpr12_vgpr13
                                        ; implicit-def: $sgpr14
	s_and_saveexec_b64 s[6:7], s[4:5]
	s_xor_b64 s[6:7], exec, s[6:7]
	s_cbranch_execz .LBB1_44
; %bb.39:                               ;   in Loop: Header=BB1_30 Depth=1
	v_cmp_ne_u32_e64 s[4:5], 0, v9
	v_pk_mov_b32 v[12:13], 0, 0
	s_and_saveexec_b64 s[14:15], s[4:5]
	s_cbranch_execz .LBB1_43
; %bb.40:                               ;   in Loop: Header=BB1_30 Depth=1
	s_mov_b32 s22, 0
	s_mov_b64 s[16:17], 0
	v_pk_mov_b32 v[12:13], 0, 0
	s_mov_b64 s[18:19], 0
.LBB1_41:                               ;   Parent Loop BB1_30 Depth=1
                                        ; =>  This Inner Loop Header: Depth=2
	v_add_u32_e32 v14, s22, v8
	buffer_load_ubyte v14, v14, s[0:3], 0 offen
	v_mov_b32_e32 v15, s20
	s_add_i32 s22, s22, 1
	v_cmp_eq_u32_e64 s[4:5], s22, v9
	s_waitcnt vmcnt(0)
	v_and_b32_e32 v14, 0xffff, v14
	v_lshlrev_b64 v[14:15], s18, v[14:15]
	s_add_u32 s18, s18, 8
	s_addc_u32 s19, s19, 0
	v_or_b32_e32 v13, v15, v13
	s_or_b64 s[16:17], s[4:5], s[16:17]
	v_or_b32_e32 v12, v14, v12
	s_andn2_b64 exec, exec, s[16:17]
	s_cbranch_execnz .LBB1_41
; %bb.42:                               ;   in Loop: Header=BB1_30 Depth=1
	s_or_b64 exec, exec, s[16:17]
.LBB1_43:                               ;   in Loop: Header=BB1_30 Depth=1
	s_or_b64 exec, exec, s[14:15]
	s_mov_b32 s14, 0
                                        ; implicit-def: $vgpr9
.LBB1_44:                               ;   in Loop: Header=BB1_30 Depth=1
	s_or_saveexec_b64 s[4:5], s[6:7]
	v_mov_b32_e32 v16, s14
	s_xor_b64 exec, exec, s[4:5]
	s_cbranch_execz .LBB1_46
; %bb.45:                               ;   in Loop: Header=BB1_30 Depth=1
	buffer_load_dword v12, v8, s[0:3], 0 offen offset:4
	buffer_load_dword v13, v8, s[0:3], 0 offen
	v_add_u32_e32 v16, -8, v9
	v_add_u32_e32 v8, 8, v8
	s_waitcnt vmcnt(1)
	v_and_b32_e32 v9, 0xff, v12
	v_and_b32_e32 v14, 0xff00, v12
	s_waitcnt vmcnt(0)
	v_or3_b32 v13, v13, 0, 0
	v_and_b32_e32 v15, 0xff0000, v12
	v_and_b32_e32 v17, 0xff000000, v12
	v_or3_b32 v9, 0, v9, v14
	v_or3_b32 v12, v13, 0, 0
	;; [unrolled: 1-line block ×3, first 2 shown]
.LBB1_46:                               ;   in Loop: Header=BB1_30 Depth=1
	s_or_b64 exec, exec, s[4:5]
	v_cmp_gt_u32_e64 s[4:5], 8, v16
                                        ; implicit-def: $sgpr14
	s_and_saveexec_b64 s[6:7], s[4:5]
	s_xor_b64 s[6:7], exec, s[6:7]
	s_cbranch_execz .LBB1_52
; %bb.47:                               ;   in Loop: Header=BB1_30 Depth=1
	v_cmp_ne_u32_e64 s[4:5], 0, v16
	v_pk_mov_b32 v[14:15], 0, 0
	s_and_saveexec_b64 s[14:15], s[4:5]
	s_cbranch_execz .LBB1_51
; %bb.48:                               ;   in Loop: Header=BB1_30 Depth=1
	s_mov_b32 s22, 0
	s_mov_b64 s[16:17], 0
	v_pk_mov_b32 v[14:15], 0, 0
	s_mov_b64 s[18:19], 0
.LBB1_49:                               ;   Parent Loop BB1_30 Depth=1
                                        ; =>  This Inner Loop Header: Depth=2
	v_add_u32_e32 v9, s22, v8
	buffer_load_ubyte v9, v9, s[0:3], 0 offen
	v_mov_b32_e32 v19, s20
	s_add_i32 s22, s22, 1
	v_cmp_eq_u32_e64 s[4:5], s22, v16
	s_waitcnt vmcnt(0)
	v_and_b32_e32 v18, 0xffff, v9
	v_lshlrev_b64 v[18:19], s18, v[18:19]
	s_add_u32 s18, s18, 8
	s_addc_u32 s19, s19, 0
	v_or_b32_e32 v15, v19, v15
	s_or_b64 s[16:17], s[4:5], s[16:17]
	v_or_b32_e32 v14, v18, v14
	s_andn2_b64 exec, exec, s[16:17]
	s_cbranch_execnz .LBB1_49
; %bb.50:                               ;   in Loop: Header=BB1_30 Depth=1
	s_or_b64 exec, exec, s[16:17]
.LBB1_51:                               ;   in Loop: Header=BB1_30 Depth=1
	s_or_b64 exec, exec, s[14:15]
	s_mov_b32 s14, 0
                                        ; implicit-def: $vgpr16
.LBB1_52:                               ;   in Loop: Header=BB1_30 Depth=1
	s_or_saveexec_b64 s[4:5], s[6:7]
	v_mov_b32_e32 v9, s14
	s_xor_b64 exec, exec, s[4:5]
	s_cbranch_execz .LBB1_54
; %bb.53:                               ;   in Loop: Header=BB1_30 Depth=1
	buffer_load_dword v14, v8, s[0:3], 0 offen offset:4
	buffer_load_dword v15, v8, s[0:3], 0 offen
	v_add_u32_e32 v9, -8, v16
	v_add_u32_e32 v8, 8, v8
	s_waitcnt vmcnt(1)
	v_and_b32_e32 v16, 0xff, v14
	v_and_b32_e32 v17, 0xff00, v14
	s_waitcnt vmcnt(0)
	v_or3_b32 v15, v15, 0, 0
	v_and_b32_e32 v18, 0xff0000, v14
	v_and_b32_e32 v19, 0xff000000, v14
	v_or3_b32 v16, 0, v16, v17
	v_or3_b32 v14, v15, 0, 0
	;; [unrolled: 1-line block ×3, first 2 shown]
.LBB1_54:                               ;   in Loop: Header=BB1_30 Depth=1
	s_or_b64 exec, exec, s[4:5]
	v_cmp_gt_u32_e64 s[4:5], 8, v9
                                        ; implicit-def: $vgpr16_vgpr17
                                        ; implicit-def: $sgpr14
	s_and_saveexec_b64 s[6:7], s[4:5]
	s_xor_b64 s[6:7], exec, s[6:7]
	s_cbranch_execz .LBB1_60
; %bb.55:                               ;   in Loop: Header=BB1_30 Depth=1
	v_cmp_ne_u32_e64 s[4:5], 0, v9
	v_pk_mov_b32 v[16:17], 0, 0
	s_and_saveexec_b64 s[14:15], s[4:5]
	s_cbranch_execz .LBB1_59
; %bb.56:                               ;   in Loop: Header=BB1_30 Depth=1
	s_mov_b32 s22, 0
	s_mov_b64 s[16:17], 0
	v_pk_mov_b32 v[16:17], 0, 0
	s_mov_b64 s[18:19], 0
.LBB1_57:                               ;   Parent Loop BB1_30 Depth=1
                                        ; =>  This Inner Loop Header: Depth=2
	v_add_u32_e32 v18, s22, v8
	buffer_load_ubyte v18, v18, s[0:3], 0 offen
	v_mov_b32_e32 v19, s20
	s_add_i32 s22, s22, 1
	v_cmp_eq_u32_e64 s[4:5], s22, v9
	s_waitcnt vmcnt(0)
	v_and_b32_e32 v18, 0xffff, v18
	v_lshlrev_b64 v[18:19], s18, v[18:19]
	s_add_u32 s18, s18, 8
	s_addc_u32 s19, s19, 0
	v_or_b32_e32 v17, v19, v17
	s_or_b64 s[16:17], s[4:5], s[16:17]
	v_or_b32_e32 v16, v18, v16
	s_andn2_b64 exec, exec, s[16:17]
	s_cbranch_execnz .LBB1_57
; %bb.58:                               ;   in Loop: Header=BB1_30 Depth=1
	s_or_b64 exec, exec, s[16:17]
.LBB1_59:                               ;   in Loop: Header=BB1_30 Depth=1
	s_or_b64 exec, exec, s[14:15]
	s_mov_b32 s14, 0
                                        ; implicit-def: $vgpr9
.LBB1_60:                               ;   in Loop: Header=BB1_30 Depth=1
	s_or_saveexec_b64 s[4:5], s[6:7]
	v_mov_b32_e32 v20, s14
	s_xor_b64 exec, exec, s[4:5]
	s_cbranch_execz .LBB1_62
; %bb.61:                               ;   in Loop: Header=BB1_30 Depth=1
	buffer_load_dword v16, v8, s[0:3], 0 offen offset:4
	buffer_load_dword v17, v8, s[0:3], 0 offen
	v_add_u32_e32 v20, -8, v9
	v_add_u32_e32 v8, 8, v8
	s_waitcnt vmcnt(1)
	v_and_b32_e32 v9, 0xff, v16
	v_and_b32_e32 v18, 0xff00, v16
	s_waitcnt vmcnt(0)
	v_or3_b32 v17, v17, 0, 0
	v_and_b32_e32 v19, 0xff0000, v16
	v_and_b32_e32 v21, 0xff000000, v16
	v_or3_b32 v9, 0, v9, v18
	v_or3_b32 v16, v17, 0, 0
	v_or3_b32 v17, v9, v19, v21
.LBB1_62:                               ;   in Loop: Header=BB1_30 Depth=1
	s_or_b64 exec, exec, s[4:5]
	v_cmp_gt_u32_e64 s[4:5], 8, v20
                                        ; implicit-def: $sgpr14
	s_and_saveexec_b64 s[6:7], s[4:5]
	s_xor_b64 s[6:7], exec, s[6:7]
	s_cbranch_execz .LBB1_68
; %bb.63:                               ;   in Loop: Header=BB1_30 Depth=1
	v_cmp_ne_u32_e64 s[4:5], 0, v20
	v_pk_mov_b32 v[18:19], 0, 0
	s_and_saveexec_b64 s[14:15], s[4:5]
	s_cbranch_execz .LBB1_67
; %bb.64:                               ;   in Loop: Header=BB1_30 Depth=1
	s_mov_b32 s22, 0
	s_mov_b64 s[16:17], 0
	v_pk_mov_b32 v[18:19], 0, 0
	s_mov_b64 s[18:19], 0
.LBB1_65:                               ;   Parent Loop BB1_30 Depth=1
                                        ; =>  This Inner Loop Header: Depth=2
	v_add_u32_e32 v9, s22, v8
	buffer_load_ubyte v9, v9, s[0:3], 0 offen
	v_mov_b32_e32 v23, s20
	s_add_i32 s22, s22, 1
	v_cmp_eq_u32_e64 s[4:5], s22, v20
	s_waitcnt vmcnt(0)
	v_and_b32_e32 v22, 0xffff, v9
	v_lshlrev_b64 v[22:23], s18, v[22:23]
	s_add_u32 s18, s18, 8
	s_addc_u32 s19, s19, 0
	v_or_b32_e32 v19, v23, v19
	s_or_b64 s[16:17], s[4:5], s[16:17]
	v_or_b32_e32 v18, v22, v18
	s_andn2_b64 exec, exec, s[16:17]
	s_cbranch_execnz .LBB1_65
; %bb.66:                               ;   in Loop: Header=BB1_30 Depth=1
	s_or_b64 exec, exec, s[16:17]
.LBB1_67:                               ;   in Loop: Header=BB1_30 Depth=1
	s_or_b64 exec, exec, s[14:15]
	s_mov_b32 s14, 0
                                        ; implicit-def: $vgpr20
.LBB1_68:                               ;   in Loop: Header=BB1_30 Depth=1
	s_or_saveexec_b64 s[4:5], s[6:7]
	v_mov_b32_e32 v9, s14
	s_xor_b64 exec, exec, s[4:5]
	s_cbranch_execz .LBB1_70
; %bb.69:                               ;   in Loop: Header=BB1_30 Depth=1
	buffer_load_dword v18, v8, s[0:3], 0 offen offset:4
	buffer_load_dword v19, v8, s[0:3], 0 offen
	v_add_u32_e32 v9, -8, v20
	v_add_u32_e32 v8, 8, v8
	s_waitcnt vmcnt(1)
	v_and_b32_e32 v20, 0xff, v18
	v_and_b32_e32 v21, 0xff00, v18
	s_waitcnt vmcnt(0)
	v_or3_b32 v19, v19, 0, 0
	v_and_b32_e32 v22, 0xff0000, v18
	v_and_b32_e32 v23, 0xff000000, v18
	v_or3_b32 v20, 0, v20, v21
	v_or3_b32 v18, v19, 0, 0
	v_or3_b32 v19, v20, v22, v23
.LBB1_70:                               ;   in Loop: Header=BB1_30 Depth=1
	s_or_b64 exec, exec, s[4:5]
	v_cmp_gt_u32_e64 s[4:5], 8, v9
                                        ; implicit-def: $vgpr20_vgpr21
                                        ; implicit-def: $sgpr14
	s_and_saveexec_b64 s[6:7], s[4:5]
	s_xor_b64 s[6:7], exec, s[6:7]
	s_cbranch_execz .LBB1_76
; %bb.71:                               ;   in Loop: Header=BB1_30 Depth=1
	v_cmp_ne_u32_e64 s[4:5], 0, v9
	v_pk_mov_b32 v[20:21], 0, 0
	s_and_saveexec_b64 s[14:15], s[4:5]
	s_cbranch_execz .LBB1_75
; %bb.72:                               ;   in Loop: Header=BB1_30 Depth=1
	s_mov_b32 s22, 0
	s_mov_b64 s[16:17], 0
	v_pk_mov_b32 v[20:21], 0, 0
	s_mov_b64 s[18:19], 0
.LBB1_73:                               ;   Parent Loop BB1_30 Depth=1
                                        ; =>  This Inner Loop Header: Depth=2
	v_add_u32_e32 v22, s22, v8
	buffer_load_ubyte v22, v22, s[0:3], 0 offen
	v_mov_b32_e32 v23, s20
	s_add_i32 s22, s22, 1
	v_cmp_eq_u32_e64 s[4:5], s22, v9
	s_waitcnt vmcnt(0)
	v_and_b32_e32 v22, 0xffff, v22
	v_lshlrev_b64 v[22:23], s18, v[22:23]
	s_add_u32 s18, s18, 8
	s_addc_u32 s19, s19, 0
	v_or_b32_e32 v21, v23, v21
	s_or_b64 s[16:17], s[4:5], s[16:17]
	v_or_b32_e32 v20, v22, v20
	s_andn2_b64 exec, exec, s[16:17]
	s_cbranch_execnz .LBB1_73
; %bb.74:                               ;   in Loop: Header=BB1_30 Depth=1
	s_or_b64 exec, exec, s[16:17]
.LBB1_75:                               ;   in Loop: Header=BB1_30 Depth=1
	s_or_b64 exec, exec, s[14:15]
	s_mov_b32 s14, 0
                                        ; implicit-def: $vgpr9
.LBB1_76:                               ;   in Loop: Header=BB1_30 Depth=1
	s_or_saveexec_b64 s[4:5], s[6:7]
	v_mov_b32_e32 v24, s14
	s_xor_b64 exec, exec, s[4:5]
	s_cbranch_execz .LBB1_78
; %bb.77:                               ;   in Loop: Header=BB1_30 Depth=1
	buffer_load_dword v20, v8, s[0:3], 0 offen offset:4
	buffer_load_dword v21, v8, s[0:3], 0 offen
	v_add_u32_e32 v24, -8, v9
	v_add_u32_e32 v8, 8, v8
	s_waitcnt vmcnt(1)
	v_and_b32_e32 v9, 0xff, v20
	v_and_b32_e32 v22, 0xff00, v20
	s_waitcnt vmcnt(0)
	v_or3_b32 v21, v21, 0, 0
	v_and_b32_e32 v23, 0xff0000, v20
	v_and_b32_e32 v25, 0xff000000, v20
	v_or3_b32 v9, 0, v9, v22
	v_or3_b32 v20, v21, 0, 0
	;; [unrolled: 1-line block ×3, first 2 shown]
.LBB1_78:                               ;   in Loop: Header=BB1_30 Depth=1
	s_or_b64 exec, exec, s[4:5]
	v_cmp_gt_u32_e64 s[4:5], 8, v24
	s_and_saveexec_b64 s[6:7], s[4:5]
	s_xor_b64 s[6:7], exec, s[6:7]
	s_cbranch_execz .LBB1_84
; %bb.79:                               ;   in Loop: Header=BB1_30 Depth=1
	v_cmp_ne_u32_e64 s[4:5], 0, v24
	v_pk_mov_b32 v[22:23], 0, 0
	s_and_saveexec_b64 s[14:15], s[4:5]
	s_cbranch_execz .LBB1_83
; %bb.80:                               ;   in Loop: Header=BB1_30 Depth=1
	s_mov_b64 s[16:17], 0
	v_pk_mov_b32 v[22:23], 0, 0
	s_mov_b64 s[18:19], 0
.LBB1_81:                               ;   Parent Loop BB1_30 Depth=1
                                        ; =>  This Inner Loop Header: Depth=2
	buffer_load_ubyte v9, v8, s[0:3], 0 offen
	v_mov_b32_e32 v27, s20
	v_add_u32_e32 v24, -1, v24
	v_cmp_eq_u32_e64 s[4:5], 0, v24
	v_add_u32_e32 v8, 1, v8
	s_waitcnt vmcnt(0)
	v_and_b32_e32 v26, 0xffff, v9
	v_lshlrev_b64 v[26:27], s18, v[26:27]
	s_add_u32 s18, s18, 8
	s_addc_u32 s19, s19, 0
	v_or_b32_e32 v23, v27, v23
	s_or_b64 s[16:17], s[4:5], s[16:17]
	v_or_b32_e32 v22, v26, v22
	s_andn2_b64 exec, exec, s[16:17]
	s_cbranch_execnz .LBB1_81
; %bb.82:                               ;   in Loop: Header=BB1_30 Depth=1
	s_or_b64 exec, exec, s[16:17]
.LBB1_83:                               ;   in Loop: Header=BB1_30 Depth=1
	s_or_b64 exec, exec, s[14:15]
                                        ; implicit-def: $vgpr8
.LBB1_84:                               ;   in Loop: Header=BB1_30 Depth=1
	s_andn2_saveexec_b64 s[4:5], s[6:7]
	s_cbranch_execz .LBB1_86
; %bb.85:                               ;   in Loop: Header=BB1_30 Depth=1
	buffer_load_dword v9, v8, s[0:3], 0 offen offset:4
	buffer_load_dword v22, v8, s[0:3], 0 offen
	s_waitcnt vmcnt(1)
	v_and_b32_e32 v8, 0xff, v9
	v_and_b32_e32 v23, 0xff00, v9
	s_waitcnt vmcnt(0)
	v_or3_b32 v22, v22, 0, 0
	v_and_b32_e32 v24, 0xff0000, v9
	v_and_b32_e32 v9, 0xff000000, v9
	v_or3_b32 v8, 0, v8, v23
	v_or3_b32 v23, v8, v24, v9
	;; [unrolled: 1-line block ×3, first 2 shown]
.LBB1_86:                               ;   in Loop: Header=BB1_30 Depth=1
	s_or_b64 exec, exec, s[4:5]
	v_readfirstlane_b32 s4, v37
	v_cmp_eq_u32_e64 s[4:5], s4, v37
	v_pk_mov_b32 v[8:9], 0, 0
	s_and_saveexec_b64 s[14:15], s[4:5]
	s_cbranch_execz .LBB1_92
; %bb.87:                               ;   in Loop: Header=BB1_30 Depth=1
	global_load_dwordx2 v[26:27], v33, s[10:11] offset:24 glc
	s_waitcnt vmcnt(0)
	buffer_invl2
	buffer_wbinvl1_vol
	global_load_dwordx2 v[8:9], v33, s[10:11] offset:40
	global_load_dwordx2 v[24:25], v33, s[10:11]
	s_waitcnt vmcnt(1)
	v_and_b32_e32 v8, v8, v26
	v_and_b32_e32 v9, v9, v27
	v_mul_lo_u32 v9, v9, 24
	v_mul_hi_u32 v32, v8, 24
	v_mul_lo_u32 v8, v8, 24
	v_add_u32_e32 v9, v32, v9
	s_waitcnt vmcnt(0)
	v_add_co_u32_e64 v8, s[6:7], v24, v8
	v_addc_co_u32_e64 v9, s[6:7], v25, v9, s[6:7]
	global_load_dwordx2 v[24:25], v[8:9], off glc
	s_waitcnt vmcnt(0)
	global_atomic_cmpswap_x2 v[8:9], v33, v[24:27], s[10:11] offset:24 glc
	s_waitcnt vmcnt(0)
	buffer_invl2
	buffer_wbinvl1_vol
	v_cmp_ne_u64_e64 s[6:7], v[8:9], v[26:27]
	s_and_saveexec_b64 s[16:17], s[6:7]
	s_cbranch_execz .LBB1_91
; %bb.88:                               ;   in Loop: Header=BB1_30 Depth=1
	s_mov_b64 s[18:19], 0
.LBB1_89:                               ;   Parent Loop BB1_30 Depth=1
                                        ; =>  This Inner Loop Header: Depth=2
	s_sleep 1
	global_load_dwordx2 v[24:25], v33, s[10:11] offset:40
	global_load_dwordx2 v[34:35], v33, s[10:11]
	v_pk_mov_b32 v[26:27], v[8:9], v[8:9] op_sel:[0,1]
	s_waitcnt vmcnt(1)
	v_and_b32_e32 v8, v24, v26
	s_waitcnt vmcnt(0)
	v_mad_u64_u32 v[8:9], s[6:7], v8, 24, v[34:35]
	v_and_b32_e32 v25, v25, v27
	v_mov_b32_e32 v24, v9
	v_mad_u64_u32 v[24:25], s[6:7], v25, 24, v[24:25]
	v_mov_b32_e32 v9, v24
	global_load_dwordx2 v[24:25], v[8:9], off glc
	s_waitcnt vmcnt(0)
	global_atomic_cmpswap_x2 v[8:9], v33, v[24:27], s[10:11] offset:24 glc
	s_waitcnt vmcnt(0)
	buffer_invl2
	buffer_wbinvl1_vol
	v_cmp_eq_u64_e64 s[6:7], v[8:9], v[26:27]
	s_or_b64 s[18:19], s[6:7], s[18:19]
	s_andn2_b64 exec, exec, s[18:19]
	s_cbranch_execnz .LBB1_89
; %bb.90:                               ;   in Loop: Header=BB1_30 Depth=1
	s_or_b64 exec, exec, s[18:19]
.LBB1_91:                               ;   in Loop: Header=BB1_30 Depth=1
	s_or_b64 exec, exec, s[16:17]
.LBB1_92:                               ;   in Loop: Header=BB1_30 Depth=1
	s_or_b64 exec, exec, s[14:15]
	global_load_dwordx2 v[34:35], v33, s[10:11] offset:40
	global_load_dwordx4 v[24:27], v33, s[10:11]
	v_readfirstlane_b32 s14, v8
	v_readfirstlane_b32 s15, v9
	s_mov_b64 s[16:17], exec
	s_waitcnt vmcnt(1)
	v_readfirstlane_b32 s6, v34
	v_readfirstlane_b32 s7, v35
	s_and_b64 s[18:19], s[14:15], s[6:7]
	s_mul_i32 s6, s19, 24
	s_mul_hi_u32 s7, s18, 24
	s_mul_i32 s22, s18, 24
	s_add_i32 s6, s7, s6
	v_mov_b32_e32 v8, s6
	s_waitcnt vmcnt(0)
	v_add_co_u32_e64 v34, s[6:7], s22, v24
	v_addc_co_u32_e64 v35, s[6:7], v25, v8, s[6:7]
	s_and_saveexec_b64 s[6:7], s[4:5]
	s_cbranch_execz .LBB1_94
; %bb.93:                               ;   in Loop: Header=BB1_30 Depth=1
	v_pk_mov_b32 v[8:9], s[16:17], s[16:17] op_sel:[0,1]
	global_store_dwordx4 v[34:35], v[8:11], off offset:8
.LBB1_94:                               ;   in Loop: Header=BB1_30 Depth=1
	s_or_b64 exec, exec, s[6:7]
	s_lshl_b64 s[6:7], s[18:19], 12
	v_cndmask_b32_e32 v39, 0, v29, vcc
	v_mov_b32_e32 v9, s7
	v_add_co_u32_e32 v8, vcc, s6, v26
	v_addc_co_u32_e32 v9, vcc, v27, v9, vcc
	v_or_b32_e32 v26, 0, v1
	v_cmp_lt_u64_e32 vcc, 56, v[28:29]
	v_or_b32_e32 v27, v0, v30
	v_cndmask_b32_e32 v1, v26, v1, vcc
	v_lshl_add_u32 v26, v38, 2, 28
	v_cndmask_b32_e32 v0, v27, v0, vcc
	v_and_b32_e32 v26, 0x1e0, v26
	v_and_or_b32 v0, v0, s21, v26
	v_readfirstlane_b32 s6, v8
	v_readfirstlane_b32 s7, v9
	s_nop 4
	global_store_dwordx4 v36, v[0:3], s[6:7]
	global_store_dwordx4 v36, v[12:15], s[6:7] offset:16
	global_store_dwordx4 v36, v[16:19], s[6:7] offset:32
	;; [unrolled: 1-line block ×3, first 2 shown]
	s_and_saveexec_b64 s[6:7], s[4:5]
	s_cbranch_execz .LBB1_102
; %bb.95:                               ;   in Loop: Header=BB1_30 Depth=1
	global_load_dwordx2 v[16:17], v33, s[10:11] offset:32 glc
	global_load_dwordx2 v[0:1], v33, s[10:11] offset:40
	v_mov_b32_e32 v14, s14
	v_mov_b32_e32 v15, s15
	s_waitcnt vmcnt(0)
	v_readfirstlane_b32 s16, v0
	v_readfirstlane_b32 s17, v1
	s_and_b64 s[16:17], s[16:17], s[14:15]
	s_mul_i32 s17, s17, 24
	s_mul_hi_u32 s18, s16, 24
	s_mul_i32 s16, s16, 24
	s_add_i32 s17, s18, s17
	v_mov_b32_e32 v0, s17
	v_add_co_u32_e32 v12, vcc, s16, v24
	v_addc_co_u32_e32 v13, vcc, v25, v0, vcc
	global_store_dwordx2 v[12:13], v[16:17], off
	buffer_wbl2
	s_waitcnt vmcnt(0)
	global_atomic_cmpswap_x2 v[2:3], v33, v[14:17], s[10:11] offset:32 glc
	s_waitcnt vmcnt(0)
	v_cmp_ne_u64_e32 vcc, v[2:3], v[16:17]
	s_and_saveexec_b64 s[16:17], vcc
	s_cbranch_execz .LBB1_98
; %bb.96:                               ;   in Loop: Header=BB1_30 Depth=1
	s_mov_b64 s[18:19], 0
.LBB1_97:                               ;   Parent Loop BB1_30 Depth=1
                                        ; =>  This Inner Loop Header: Depth=2
	s_sleep 1
	global_store_dwordx2 v[12:13], v[2:3], off
	v_mov_b32_e32 v0, s14
	v_mov_b32_e32 v1, s15
	buffer_wbl2
	s_waitcnt vmcnt(0)
	global_atomic_cmpswap_x2 v[0:1], v33, v[0:3], s[10:11] offset:32 glc
	s_waitcnt vmcnt(0)
	v_cmp_eq_u64_e32 vcc, v[0:1], v[2:3]
	s_or_b64 s[18:19], vcc, s[18:19]
	v_pk_mov_b32 v[2:3], v[0:1], v[0:1] op_sel:[0,1]
	s_andn2_b64 exec, exec, s[18:19]
	s_cbranch_execnz .LBB1_97
.LBB1_98:                               ;   in Loop: Header=BB1_30 Depth=1
	s_or_b64 exec, exec, s[16:17]
	global_load_dwordx2 v[0:1], v33, s[10:11] offset:16
	s_mov_b64 s[18:19], exec
	v_mbcnt_lo_u32_b32 v2, s18, 0
	v_mbcnt_hi_u32_b32 v2, s19, v2
	v_cmp_eq_u32_e32 vcc, 0, v2
	s_and_saveexec_b64 s[16:17], vcc
	s_cbranch_execz .LBB1_100
; %bb.99:                               ;   in Loop: Header=BB1_30 Depth=1
	s_bcnt1_i32_b64 s18, s[18:19]
	v_mov_b32_e32 v32, s18
	buffer_wbl2
	s_waitcnt vmcnt(0)
	global_atomic_add_x2 v[0:1], v[32:33], off offset:8
.LBB1_100:                              ;   in Loop: Header=BB1_30 Depth=1
	s_or_b64 exec, exec, s[16:17]
	s_waitcnt vmcnt(0)
	global_load_dwordx2 v[2:3], v[0:1], off offset:16
	s_waitcnt vmcnt(0)
	v_cmp_eq_u64_e32 vcc, 0, v[2:3]
	s_cbranch_vccnz .LBB1_102
; %bb.101:                              ;   in Loop: Header=BB1_30 Depth=1
	global_load_dword v32, v[0:1], off offset:24
	s_waitcnt vmcnt(0)
	v_and_b32_e32 v0, 0xffffff, v32
	v_readfirstlane_b32 m0, v0
	buffer_wbl2
	global_store_dwordx2 v[2:3], v[32:33], off
	s_sendmsg sendmsg(MSG_INTERRUPT)
.LBB1_102:                              ;   in Loop: Header=BB1_30 Depth=1
	s_or_b64 exec, exec, s[6:7]
	v_add_co_u32_e32 v0, vcc, v8, v36
	v_addc_co_u32_e32 v1, vcc, 0, v9, vcc
	s_branch .LBB1_106
.LBB1_103:                              ;   in Loop: Header=BB1_106 Depth=2
	s_or_b64 exec, exec, s[6:7]
	v_readfirstlane_b32 s6, v2
	s_cmp_eq_u32 s6, 0
	s_cbranch_scc1 .LBB1_105
; %bb.104:                              ;   in Loop: Header=BB1_106 Depth=2
	s_sleep 1
	s_cbranch_execnz .LBB1_106
	s_branch .LBB1_108
.LBB1_105:                              ;   in Loop: Header=BB1_30 Depth=1
	s_branch .LBB1_108
.LBB1_106:                              ;   Parent Loop BB1_30 Depth=1
                                        ; =>  This Inner Loop Header: Depth=2
	v_mov_b32_e32 v2, 1
	s_and_saveexec_b64 s[6:7], s[4:5]
	s_cbranch_execz .LBB1_103
; %bb.107:                              ;   in Loop: Header=BB1_106 Depth=2
	global_load_dword v2, v[34:35], off offset:20 glc
	s_waitcnt vmcnt(0)
	buffer_invl2
	buffer_wbinvl1_vol
	v_and_b32_e32 v2, 1, v2
	s_branch .LBB1_103
.LBB1_108:                              ;   in Loop: Header=BB1_30 Depth=1
	global_load_dwordx4 v[0:3], v[0:1], off
	s_and_saveexec_b64 s[6:7], s[4:5]
	s_cbranch_execz .LBB1_29
; %bb.109:                              ;   in Loop: Header=BB1_30 Depth=1
	global_load_dwordx2 v[2:3], v33, s[10:11] offset:40
	global_load_dwordx2 v[8:9], v33, s[10:11] offset:24 glc
	global_load_dwordx2 v[16:17], v33, s[10:11]
	v_mov_b32_e32 v13, s15
	s_waitcnt vmcnt(2)
	v_add_co_u32_e32 v15, vcc, 1, v2
	v_addc_co_u32_e32 v18, vcc, 0, v3, vcc
	v_add_co_u32_e32 v12, vcc, s14, v15
	v_addc_co_u32_e32 v13, vcc, v18, v13, vcc
	v_cmp_eq_u64_e32 vcc, 0, v[12:13]
	v_cndmask_b32_e32 v13, v13, v18, vcc
	v_cndmask_b32_e32 v12, v12, v15, vcc
	v_and_b32_e32 v3, v13, v3
	v_and_b32_e32 v2, v12, v2
	v_mul_lo_u32 v3, v3, 24
	v_mul_hi_u32 v15, v2, 24
	v_mul_lo_u32 v2, v2, 24
	v_add_u32_e32 v3, v15, v3
	s_waitcnt vmcnt(0)
	v_add_co_u32_e32 v2, vcc, v16, v2
	v_addc_co_u32_e32 v3, vcc, v17, v3, vcc
	v_mov_b32_e32 v14, v8
	global_store_dwordx2 v[2:3], v[8:9], off
	v_mov_b32_e32 v15, v9
	buffer_wbl2
	s_waitcnt vmcnt(0)
	global_atomic_cmpswap_x2 v[14:15], v33, v[12:15], s[10:11] offset:24 glc
	s_waitcnt vmcnt(0)
	v_cmp_ne_u64_e32 vcc, v[14:15], v[8:9]
	s_and_b64 exec, exec, vcc
	s_cbranch_execz .LBB1_29
; %bb.110:                              ;   in Loop: Header=BB1_30 Depth=1
	s_mov_b64 s[4:5], 0
.LBB1_111:                              ;   Parent Loop BB1_30 Depth=1
                                        ; =>  This Inner Loop Header: Depth=2
	s_sleep 1
	global_store_dwordx2 v[2:3], v[14:15], off
	buffer_wbl2
	s_waitcnt vmcnt(0)
	global_atomic_cmpswap_x2 v[8:9], v33, v[12:15], s[10:11] offset:24 glc
	s_waitcnt vmcnt(0)
	v_cmp_eq_u64_e32 vcc, v[8:9], v[14:15]
	s_or_b64 s[4:5], vcc, s[4:5]
	v_pk_mov_b32 v[14:15], v[8:9], v[8:9] op_sel:[0,1]
	s_andn2_b64 exec, exec, s[4:5]
	s_cbranch_execnz .LBB1_111
	s_branch .LBB1_29
.LBB1_112:
                                        ; implicit-def: $vgpr0_vgpr1
	s_cbranch_execnz .LBB1_114
	s_branch .LBB1_140
.LBB1_113:
	s_or_b64 exec, exec, s[12:13]
	s_branch .LBB1_140
.LBB1_114:
	v_readfirstlane_b32 s4, v37
	v_cmp_eq_u32_e64 s[4:5], s4, v37
	v_pk_mov_b32 v[10:11], 0, 0
	s_and_saveexec_b64 s[6:7], s[4:5]
	s_cbranch_execz .LBB1_120
; %bb.115:
	s_waitcnt vmcnt(0)
	v_mov_b32_e32 v0, 0
	global_load_dwordx2 v[12:13], v0, s[10:11] offset:24 glc
	s_waitcnt vmcnt(0)
	buffer_invl2
	buffer_wbinvl1_vol
	global_load_dwordx2 v[2:3], v0, s[10:11] offset:40
	global_load_dwordx2 v[8:9], v0, s[10:11]
	s_waitcnt vmcnt(1)
	v_and_b32_e32 v1, v2, v12
	v_and_b32_e32 v2, v3, v13
	v_mul_lo_u32 v2, v2, 24
	v_mul_hi_u32 v3, v1, 24
	v_mul_lo_u32 v1, v1, 24
	v_add_u32_e32 v3, v3, v2
	s_waitcnt vmcnt(0)
	v_add_co_u32_e32 v2, vcc, v8, v1
	v_addc_co_u32_e32 v3, vcc, v9, v3, vcc
	global_load_dwordx2 v[10:11], v[2:3], off glc
	s_waitcnt vmcnt(0)
	global_atomic_cmpswap_x2 v[10:11], v0, v[10:13], s[10:11] offset:24 glc
	s_waitcnt vmcnt(0)
	buffer_invl2
	buffer_wbinvl1_vol
	v_cmp_ne_u64_e32 vcc, v[10:11], v[12:13]
	s_and_saveexec_b64 s[12:13], vcc
	s_cbranch_execz .LBB1_119
; %bb.116:
	s_mov_b64 s[14:15], 0
.LBB1_117:                              ; =>This Inner Loop Header: Depth=1
	s_sleep 1
	global_load_dwordx2 v[2:3], v0, s[10:11] offset:40
	global_load_dwordx2 v[8:9], v0, s[10:11]
	v_pk_mov_b32 v[12:13], v[10:11], v[10:11] op_sel:[0,1]
	s_waitcnt vmcnt(1)
	v_and_b32_e32 v2, v2, v12
	v_and_b32_e32 v1, v3, v13
	s_waitcnt vmcnt(0)
	v_mad_u64_u32 v[2:3], s[16:17], v2, 24, v[8:9]
	v_mov_b32_e32 v8, v3
	v_mad_u64_u32 v[8:9], s[16:17], v1, 24, v[8:9]
	v_mov_b32_e32 v3, v8
	global_load_dwordx2 v[10:11], v[2:3], off glc
	s_waitcnt vmcnt(0)
	global_atomic_cmpswap_x2 v[10:11], v0, v[10:13], s[10:11] offset:24 glc
	s_waitcnt vmcnt(0)
	buffer_invl2
	buffer_wbinvl1_vol
	v_cmp_eq_u64_e32 vcc, v[10:11], v[12:13]
	s_or_b64 s[14:15], vcc, s[14:15]
	s_andn2_b64 exec, exec, s[14:15]
	s_cbranch_execnz .LBB1_117
; %bb.118:
	s_or_b64 exec, exec, s[14:15]
.LBB1_119:
	s_or_b64 exec, exec, s[12:13]
.LBB1_120:
	s_or_b64 exec, exec, s[6:7]
	v_mov_b32_e32 v8, 0
	global_load_dwordx2 v[12:13], v8, s[10:11] offset:40
	global_load_dwordx4 v[0:3], v8, s[10:11]
	v_readfirstlane_b32 s6, v10
	v_readfirstlane_b32 s7, v11
	s_mov_b64 s[12:13], exec
	s_waitcnt vmcnt(1)
	v_readfirstlane_b32 s14, v12
	v_readfirstlane_b32 s15, v13
	s_and_b64 s[14:15], s[6:7], s[14:15]
	s_mul_i32 s16, s15, 24
	s_mul_hi_u32 s17, s14, 24
	s_mul_i32 s18, s14, 24
	s_add_i32 s16, s17, s16
	v_mov_b32_e32 v9, s16
	s_waitcnt vmcnt(0)
	v_add_co_u32_e32 v10, vcc, s18, v0
	v_addc_co_u32_e32 v11, vcc, v1, v9, vcc
	s_and_saveexec_b64 s[16:17], s[4:5]
	s_cbranch_execz .LBB1_122
; %bb.121:
	v_pk_mov_b32 v[12:13], s[12:13], s[12:13] op_sel:[0,1]
	v_mov_b32_e32 v14, 2
	v_mov_b32_e32 v15, 1
	global_store_dwordx4 v[10:11], v[12:15], off offset:8
.LBB1_122:
	s_or_b64 exec, exec, s[16:17]
	s_lshl_b64 s[12:13], s[14:15], 12
	v_mov_b32_e32 v9, s13
	v_add_co_u32_e32 v2, vcc, s12, v2
	s_movk_i32 s12, 0xff1f
	v_addc_co_u32_e32 v3, vcc, v3, v9, vcc
	v_and_or_b32 v6, v6, s12, 32
	s_mov_b32 s12, 0
	v_mov_b32_e32 v9, v8
	v_readfirstlane_b32 s16, v2
	v_readfirstlane_b32 s17, v3
	s_mov_b32 s13, s12
	v_add_co_u32_e32 v12, vcc, v2, v36
	s_mov_b32 s14, s12
	s_mov_b32 s15, s12
	s_nop 0
	global_store_dwordx4 v36, v[6:9], s[16:17]
	v_addc_co_u32_e32 v13, vcc, 0, v3, vcc
	v_pk_mov_b32 v[6:7], s[12:13], s[12:13] op_sel:[0,1]
	v_pk_mov_b32 v[8:9], s[14:15], s[14:15] op_sel:[0,1]
	global_store_dwordx4 v36, v[6:9], s[16:17] offset:16
	global_store_dwordx4 v36, v[6:9], s[16:17] offset:32
	;; [unrolled: 1-line block ×3, first 2 shown]
	s_and_saveexec_b64 s[12:13], s[4:5]
	s_cbranch_execz .LBB1_130
; %bb.123:
	v_mov_b32_e32 v8, 0
	global_load_dwordx2 v[16:17], v8, s[10:11] offset:32 glc
	global_load_dwordx2 v[2:3], v8, s[10:11] offset:40
	v_mov_b32_e32 v14, s6
	v_mov_b32_e32 v15, s7
	s_waitcnt vmcnt(0)
	v_readfirstlane_b32 s14, v2
	v_readfirstlane_b32 s15, v3
	s_and_b64 s[14:15], s[14:15], s[6:7]
	s_mul_i32 s15, s15, 24
	s_mul_hi_u32 s16, s14, 24
	s_mul_i32 s14, s14, 24
	s_add_i32 s15, s16, s15
	v_mov_b32_e32 v2, s15
	v_add_co_u32_e32 v6, vcc, s14, v0
	v_addc_co_u32_e32 v7, vcc, v1, v2, vcc
	global_store_dwordx2 v[6:7], v[16:17], off
	buffer_wbl2
	s_waitcnt vmcnt(0)
	global_atomic_cmpswap_x2 v[2:3], v8, v[14:17], s[10:11] offset:32 glc
	s_waitcnt vmcnt(0)
	v_cmp_ne_u64_e32 vcc, v[2:3], v[16:17]
	s_and_saveexec_b64 s[14:15], vcc
	s_cbranch_execz .LBB1_126
; %bb.124:
	s_mov_b64 s[16:17], 0
.LBB1_125:                              ; =>This Inner Loop Header: Depth=1
	s_sleep 1
	global_store_dwordx2 v[6:7], v[2:3], off
	v_mov_b32_e32 v0, s6
	v_mov_b32_e32 v1, s7
	buffer_wbl2
	s_waitcnt vmcnt(0)
	global_atomic_cmpswap_x2 v[0:1], v8, v[0:3], s[10:11] offset:32 glc
	s_waitcnt vmcnt(0)
	v_cmp_eq_u64_e32 vcc, v[0:1], v[2:3]
	s_or_b64 s[16:17], vcc, s[16:17]
	v_pk_mov_b32 v[2:3], v[0:1], v[0:1] op_sel:[0,1]
	s_andn2_b64 exec, exec, s[16:17]
	s_cbranch_execnz .LBB1_125
.LBB1_126:
	s_or_b64 exec, exec, s[14:15]
	v_mov_b32_e32 v3, 0
	global_load_dwordx2 v[0:1], v3, s[10:11] offset:16
	s_mov_b64 s[14:15], exec
	v_mbcnt_lo_u32_b32 v2, s14, 0
	v_mbcnt_hi_u32_b32 v2, s15, v2
	v_cmp_eq_u32_e32 vcc, 0, v2
	s_and_saveexec_b64 s[16:17], vcc
	s_cbranch_execz .LBB1_128
; %bb.127:
	s_bcnt1_i32_b64 s14, s[14:15]
	v_mov_b32_e32 v2, s14
	buffer_wbl2
	s_waitcnt vmcnt(0)
	global_atomic_add_x2 v[0:1], v[2:3], off offset:8
.LBB1_128:
	s_or_b64 exec, exec, s[16:17]
	s_waitcnt vmcnt(0)
	global_load_dwordx2 v[2:3], v[0:1], off offset:16
	s_waitcnt vmcnt(0)
	v_cmp_eq_u64_e32 vcc, 0, v[2:3]
	s_cbranch_vccnz .LBB1_130
; %bb.129:
	global_load_dword v0, v[0:1], off offset:24
	v_mov_b32_e32 v1, 0
	buffer_wbl2
	s_waitcnt vmcnt(0)
	global_store_dwordx2 v[2:3], v[0:1], off
	v_and_b32_e32 v0, 0xffffff, v0
	v_readfirstlane_b32 m0, v0
	s_sendmsg sendmsg(MSG_INTERRUPT)
.LBB1_130:
	s_or_b64 exec, exec, s[12:13]
	s_branch .LBB1_134
.LBB1_131:                              ;   in Loop: Header=BB1_134 Depth=1
	s_or_b64 exec, exec, s[12:13]
	v_readfirstlane_b32 s12, v0
	s_cmp_eq_u32 s12, 0
	s_cbranch_scc1 .LBB1_133
; %bb.132:                              ;   in Loop: Header=BB1_134 Depth=1
	s_sleep 1
	s_cbranch_execnz .LBB1_134
	s_branch .LBB1_136
.LBB1_133:
	s_branch .LBB1_136
.LBB1_134:                              ; =>This Inner Loop Header: Depth=1
	v_mov_b32_e32 v0, 1
	s_and_saveexec_b64 s[12:13], s[4:5]
	s_cbranch_execz .LBB1_131
; %bb.135:                              ;   in Loop: Header=BB1_134 Depth=1
	global_load_dword v0, v[10:11], off offset:20 glc
	s_waitcnt vmcnt(0)
	buffer_invl2
	buffer_wbinvl1_vol
	v_and_b32_e32 v0, 1, v0
	s_branch .LBB1_131
.LBB1_136:
	global_load_dwordx2 v[0:1], v[12:13], off
	s_and_saveexec_b64 s[12:13], s[4:5]
	s_cbranch_execz .LBB1_139
; %bb.137:
	v_mov_b32_e32 v10, 0
	global_load_dwordx2 v[2:3], v10, s[10:11] offset:40
	global_load_dwordx2 v[12:13], v10, s[10:11] offset:24 glc
	global_load_dwordx2 v[14:15], v10, s[10:11]
	v_mov_b32_e32 v7, s7
	s_mov_b64 s[4:5], 0
	s_waitcnt vmcnt(2)
	v_add_co_u32_e32 v9, vcc, 1, v2
	v_addc_co_u32_e32 v11, vcc, 0, v3, vcc
	v_add_co_u32_e32 v6, vcc, s6, v9
	v_addc_co_u32_e32 v7, vcc, v11, v7, vcc
	v_cmp_eq_u64_e32 vcc, 0, v[6:7]
	v_cndmask_b32_e32 v7, v7, v11, vcc
	v_cndmask_b32_e32 v6, v6, v9, vcc
	v_and_b32_e32 v3, v7, v3
	v_and_b32_e32 v2, v6, v2
	v_mul_lo_u32 v3, v3, 24
	v_mul_hi_u32 v9, v2, 24
	v_mul_lo_u32 v2, v2, 24
	v_add_u32_e32 v3, v9, v3
	s_waitcnt vmcnt(0)
	v_add_co_u32_e32 v2, vcc, v14, v2
	v_addc_co_u32_e32 v3, vcc, v15, v3, vcc
	v_mov_b32_e32 v8, v12
	global_store_dwordx2 v[2:3], v[12:13], off
	v_mov_b32_e32 v9, v13
	buffer_wbl2
	s_waitcnt vmcnt(0)
	global_atomic_cmpswap_x2 v[8:9], v10, v[6:9], s[10:11] offset:24 glc
	s_waitcnt vmcnt(0)
	v_cmp_ne_u64_e32 vcc, v[8:9], v[12:13]
	s_and_b64 exec, exec, vcc
	s_cbranch_execz .LBB1_139
.LBB1_138:                              ; =>This Inner Loop Header: Depth=1
	s_sleep 1
	global_store_dwordx2 v[2:3], v[8:9], off
	buffer_wbl2
	s_waitcnt vmcnt(0)
	global_atomic_cmpswap_x2 v[12:13], v10, v[6:9], s[10:11] offset:24 glc
	s_waitcnt vmcnt(0)
	v_cmp_eq_u64_e32 vcc, v[12:13], v[8:9]
	s_or_b64 s[4:5], vcc, s[4:5]
	v_pk_mov_b32 v[8:9], v[12:13], v[12:13] op_sel:[0,1]
	s_andn2_b64 exec, exec, s[4:5]
	s_cbranch_execnz .LBB1_138
.LBB1_139:
	s_or_b64 exec, exec, s[12:13]
.LBB1_140:
	s_getpc_b64 s[6:7]
	s_add_u32 s6, s6, .str.2@rel32@lo+4
	s_addc_u32 s7, s7, .str.2@rel32@hi+12
	s_cmp_lg_u64 s[6:7], 0
	s_cbranch_scc0 .LBB1_224
; %bb.141:
	s_getpc_b64 s[4:5]
	s_add_u32 s4, s4, .str.2@rel32@lo+80
	s_addc_u32 s5, s5, .str.2@rel32@hi+88
	s_sub_i32 s12, s4, s6
	s_ashr_i32 s13, s12, 31
	s_waitcnt vmcnt(0)
	v_and_b32_e32 v2, 2, v0
	v_mov_b32_e32 v33, 0
	v_and_b32_e32 v6, -3, v0
	v_mov_b32_e32 v7, v1
	v_mov_b32_e32 v10, 2
	;; [unrolled: 1-line block ×3, first 2 shown]
	s_branch .LBB1_143
.LBB1_142:                              ;   in Loop: Header=BB1_143 Depth=1
	s_or_b64 exec, exec, s[18:19]
	s_sub_u32 s12, s12, s14
	s_subb_u32 s13, s13, s15
	s_add_u32 s6, s6, s14
	s_addc_u32 s7, s7, s15
	s_cmp_lg_u64 s[12:13], 0
	s_cbranch_scc0 .LBB1_225
.LBB1_143:                              ; =>This Loop Header: Depth=1
                                        ;     Child Loop BB1_146 Depth 2
                                        ;     Child Loop BB1_153 Depth 2
	;; [unrolled: 1-line block ×11, first 2 shown]
	v_cmp_lt_u64_e64 s[4:5], s[12:13], 56
	s_and_b64 s[4:5], s[4:5], exec
	v_cmp_gt_u64_e64 s[4:5], s[12:13], 7
	s_cselect_b32 s15, s13, 0
	s_cselect_b32 s14, s12, 56
	s_and_b64 vcc, exec, s[4:5]
	s_cbranch_vccnz .LBB1_148
; %bb.144:                              ;   in Loop: Header=BB1_143 Depth=1
	s_mov_b64 s[4:5], 0
	s_cmp_eq_u64 s[12:13], 0
	v_pk_mov_b32 v[14:15], 0, 0
	s_cbranch_scc1 .LBB1_147
; %bb.145:                              ;   in Loop: Header=BB1_143 Depth=1
	s_lshl_b64 s[16:17], s[14:15], 3
	s_mov_b64 s[18:19], 0
	v_pk_mov_b32 v[14:15], 0, 0
	s_mov_b64 s[20:21], s[6:7]
.LBB1_146:                              ;   Parent Loop BB1_143 Depth=1
                                        ; =>  This Inner Loop Header: Depth=2
	global_load_ubyte v3, v33, s[20:21]
	s_waitcnt vmcnt(0)
	v_and_b32_e32 v32, 0xffff, v3
	v_lshlrev_b64 v[8:9], s18, v[32:33]
	s_add_u32 s18, s18, 8
	s_addc_u32 s19, s19, 0
	s_add_u32 s20, s20, 1
	s_addc_u32 s21, s21, 0
	v_or_b32_e32 v14, v8, v14
	s_cmp_lg_u32 s16, s18
	v_or_b32_e32 v15, v9, v15
	s_cbranch_scc1 .LBB1_146
.LBB1_147:                              ;   in Loop: Header=BB1_143 Depth=1
	s_mov_b32 s20, 0
	s_andn2_b64 vcc, exec, s[4:5]
	s_mov_b64 s[4:5], s[6:7]
	s_cbranch_vccz .LBB1_149
	s_branch .LBB1_150
.LBB1_148:                              ;   in Loop: Header=BB1_143 Depth=1
                                        ; implicit-def: $vgpr14_vgpr15
                                        ; implicit-def: $sgpr20
	s_mov_b64 s[4:5], s[6:7]
.LBB1_149:                              ;   in Loop: Header=BB1_143 Depth=1
	global_load_dwordx2 v[14:15], v33, s[6:7]
	s_add_i32 s20, s14, -8
	s_add_u32 s4, s6, 8
	s_addc_u32 s5, s7, 0
.LBB1_150:                              ;   in Loop: Header=BB1_143 Depth=1
	s_cmp_gt_u32 s20, 7
	s_cbranch_scc1 .LBB1_154
; %bb.151:                              ;   in Loop: Header=BB1_143 Depth=1
	s_cmp_eq_u32 s20, 0
	s_cbranch_scc1 .LBB1_155
; %bb.152:                              ;   in Loop: Header=BB1_143 Depth=1
	s_mov_b64 s[16:17], 0
	v_pk_mov_b32 v[16:17], 0, 0
	s_mov_b64 s[18:19], 0
.LBB1_153:                              ;   Parent Loop BB1_143 Depth=1
                                        ; =>  This Inner Loop Header: Depth=2
	s_add_u32 s22, s4, s18
	s_addc_u32 s23, s5, s19
	global_load_ubyte v3, v33, s[22:23]
	s_add_u32 s18, s18, 1
	s_addc_u32 s19, s19, 0
	s_waitcnt vmcnt(0)
	v_and_b32_e32 v32, 0xffff, v3
	v_lshlrev_b64 v[8:9], s16, v[32:33]
	s_add_u32 s16, s16, 8
	s_addc_u32 s17, s17, 0
	v_or_b32_e32 v16, v8, v16
	s_cmp_lg_u32 s20, s18
	v_or_b32_e32 v17, v9, v17
	s_cbranch_scc1 .LBB1_153
	s_branch .LBB1_156
.LBB1_154:                              ;   in Loop: Header=BB1_143 Depth=1
                                        ; implicit-def: $vgpr16_vgpr17
                                        ; implicit-def: $sgpr21
	s_branch .LBB1_157
.LBB1_155:                              ;   in Loop: Header=BB1_143 Depth=1
	v_pk_mov_b32 v[16:17], 0, 0
.LBB1_156:                              ;   in Loop: Header=BB1_143 Depth=1
	s_mov_b32 s21, 0
	s_cbranch_execnz .LBB1_158
.LBB1_157:                              ;   in Loop: Header=BB1_143 Depth=1
	global_load_dwordx2 v[16:17], v33, s[4:5]
	s_add_i32 s21, s20, -8
	s_add_u32 s4, s4, 8
	s_addc_u32 s5, s5, 0
.LBB1_158:                              ;   in Loop: Header=BB1_143 Depth=1
	s_cmp_gt_u32 s21, 7
	s_cbranch_scc1 .LBB1_162
; %bb.159:                              ;   in Loop: Header=BB1_143 Depth=1
	s_cmp_eq_u32 s21, 0
	s_cbranch_scc1 .LBB1_163
; %bb.160:                              ;   in Loop: Header=BB1_143 Depth=1
	s_mov_b64 s[16:17], 0
	v_pk_mov_b32 v[18:19], 0, 0
	s_mov_b64 s[18:19], 0
.LBB1_161:                              ;   Parent Loop BB1_143 Depth=1
                                        ; =>  This Inner Loop Header: Depth=2
	s_add_u32 s22, s4, s18
	s_addc_u32 s23, s5, s19
	global_load_ubyte v3, v33, s[22:23]
	s_add_u32 s18, s18, 1
	s_addc_u32 s19, s19, 0
	s_waitcnt vmcnt(0)
	v_and_b32_e32 v32, 0xffff, v3
	v_lshlrev_b64 v[8:9], s16, v[32:33]
	s_add_u32 s16, s16, 8
	s_addc_u32 s17, s17, 0
	v_or_b32_e32 v18, v8, v18
	s_cmp_lg_u32 s21, s18
	v_or_b32_e32 v19, v9, v19
	s_cbranch_scc1 .LBB1_161
	s_branch .LBB1_164
.LBB1_162:                              ;   in Loop: Header=BB1_143 Depth=1
                                        ; implicit-def: $sgpr20
	s_branch .LBB1_165
.LBB1_163:                              ;   in Loop: Header=BB1_143 Depth=1
	v_pk_mov_b32 v[18:19], 0, 0
.LBB1_164:                              ;   in Loop: Header=BB1_143 Depth=1
	s_mov_b32 s20, 0
	s_cbranch_execnz .LBB1_166
.LBB1_165:                              ;   in Loop: Header=BB1_143 Depth=1
	global_load_dwordx2 v[18:19], v33, s[4:5]
	s_add_i32 s20, s21, -8
	s_add_u32 s4, s4, 8
	s_addc_u32 s5, s5, 0
.LBB1_166:                              ;   in Loop: Header=BB1_143 Depth=1
	s_cmp_gt_u32 s20, 7
	s_cbranch_scc1 .LBB1_170
; %bb.167:                              ;   in Loop: Header=BB1_143 Depth=1
	s_cmp_eq_u32 s20, 0
	s_cbranch_scc1 .LBB1_171
; %bb.168:                              ;   in Loop: Header=BB1_143 Depth=1
	s_mov_b64 s[16:17], 0
	v_pk_mov_b32 v[20:21], 0, 0
	s_mov_b64 s[18:19], 0
.LBB1_169:                              ;   Parent Loop BB1_143 Depth=1
                                        ; =>  This Inner Loop Header: Depth=2
	s_add_u32 s22, s4, s18
	s_addc_u32 s23, s5, s19
	global_load_ubyte v3, v33, s[22:23]
	s_add_u32 s18, s18, 1
	s_addc_u32 s19, s19, 0
	s_waitcnt vmcnt(0)
	v_and_b32_e32 v32, 0xffff, v3
	v_lshlrev_b64 v[8:9], s16, v[32:33]
	s_add_u32 s16, s16, 8
	s_addc_u32 s17, s17, 0
	v_or_b32_e32 v20, v8, v20
	s_cmp_lg_u32 s20, s18
	v_or_b32_e32 v21, v9, v21
	s_cbranch_scc1 .LBB1_169
	s_branch .LBB1_172
.LBB1_170:                              ;   in Loop: Header=BB1_143 Depth=1
                                        ; implicit-def: $vgpr20_vgpr21
                                        ; implicit-def: $sgpr21
	s_branch .LBB1_173
.LBB1_171:                              ;   in Loop: Header=BB1_143 Depth=1
	v_pk_mov_b32 v[20:21], 0, 0
.LBB1_172:                              ;   in Loop: Header=BB1_143 Depth=1
	s_mov_b32 s21, 0
	s_cbranch_execnz .LBB1_174
.LBB1_173:                              ;   in Loop: Header=BB1_143 Depth=1
	global_load_dwordx2 v[20:21], v33, s[4:5]
	s_add_i32 s21, s20, -8
	s_add_u32 s4, s4, 8
	s_addc_u32 s5, s5, 0
.LBB1_174:                              ;   in Loop: Header=BB1_143 Depth=1
	s_cmp_gt_u32 s21, 7
	s_cbranch_scc1 .LBB1_178
; %bb.175:                              ;   in Loop: Header=BB1_143 Depth=1
	s_cmp_eq_u32 s21, 0
	s_cbranch_scc1 .LBB1_179
; %bb.176:                              ;   in Loop: Header=BB1_143 Depth=1
	s_mov_b64 s[16:17], 0
	v_pk_mov_b32 v[22:23], 0, 0
	s_mov_b64 s[18:19], 0
.LBB1_177:                              ;   Parent Loop BB1_143 Depth=1
                                        ; =>  This Inner Loop Header: Depth=2
	s_add_u32 s22, s4, s18
	s_addc_u32 s23, s5, s19
	global_load_ubyte v3, v33, s[22:23]
	s_add_u32 s18, s18, 1
	s_addc_u32 s19, s19, 0
	s_waitcnt vmcnt(0)
	v_and_b32_e32 v32, 0xffff, v3
	v_lshlrev_b64 v[8:9], s16, v[32:33]
	s_add_u32 s16, s16, 8
	s_addc_u32 s17, s17, 0
	v_or_b32_e32 v22, v8, v22
	s_cmp_lg_u32 s21, s18
	v_or_b32_e32 v23, v9, v23
	s_cbranch_scc1 .LBB1_177
	s_branch .LBB1_180
.LBB1_178:                              ;   in Loop: Header=BB1_143 Depth=1
                                        ; implicit-def: $sgpr20
	s_branch .LBB1_181
.LBB1_179:                              ;   in Loop: Header=BB1_143 Depth=1
	v_pk_mov_b32 v[22:23], 0, 0
.LBB1_180:                              ;   in Loop: Header=BB1_143 Depth=1
	s_mov_b32 s20, 0
	s_cbranch_execnz .LBB1_182
.LBB1_181:                              ;   in Loop: Header=BB1_143 Depth=1
	global_load_dwordx2 v[22:23], v33, s[4:5]
	s_add_i32 s20, s21, -8
	s_add_u32 s4, s4, 8
	s_addc_u32 s5, s5, 0
.LBB1_182:                              ;   in Loop: Header=BB1_143 Depth=1
	s_cmp_gt_u32 s20, 7
	s_cbranch_scc1 .LBB1_186
; %bb.183:                              ;   in Loop: Header=BB1_143 Depth=1
	s_cmp_eq_u32 s20, 0
	s_cbranch_scc1 .LBB1_187
; %bb.184:                              ;   in Loop: Header=BB1_143 Depth=1
	s_mov_b64 s[16:17], 0
	v_pk_mov_b32 v[24:25], 0, 0
	s_mov_b64 s[18:19], 0
.LBB1_185:                              ;   Parent Loop BB1_143 Depth=1
                                        ; =>  This Inner Loop Header: Depth=2
	s_add_u32 s22, s4, s18
	s_addc_u32 s23, s5, s19
	global_load_ubyte v3, v33, s[22:23]
	s_add_u32 s18, s18, 1
	s_addc_u32 s19, s19, 0
	s_waitcnt vmcnt(0)
	v_and_b32_e32 v32, 0xffff, v3
	v_lshlrev_b64 v[8:9], s16, v[32:33]
	s_add_u32 s16, s16, 8
	s_addc_u32 s17, s17, 0
	v_or_b32_e32 v24, v8, v24
	s_cmp_lg_u32 s20, s18
	v_or_b32_e32 v25, v9, v25
	s_cbranch_scc1 .LBB1_185
	s_branch .LBB1_188
.LBB1_186:                              ;   in Loop: Header=BB1_143 Depth=1
                                        ; implicit-def: $vgpr24_vgpr25
                                        ; implicit-def: $sgpr21
	s_branch .LBB1_189
.LBB1_187:                              ;   in Loop: Header=BB1_143 Depth=1
	v_pk_mov_b32 v[24:25], 0, 0
.LBB1_188:                              ;   in Loop: Header=BB1_143 Depth=1
	s_mov_b32 s21, 0
	s_cbranch_execnz .LBB1_190
.LBB1_189:                              ;   in Loop: Header=BB1_143 Depth=1
	global_load_dwordx2 v[24:25], v33, s[4:5]
	s_add_i32 s21, s20, -8
	s_add_u32 s4, s4, 8
	s_addc_u32 s5, s5, 0
.LBB1_190:                              ;   in Loop: Header=BB1_143 Depth=1
	s_cmp_gt_u32 s21, 7
	s_cbranch_scc1 .LBB1_194
; %bb.191:                              ;   in Loop: Header=BB1_143 Depth=1
	s_cmp_eq_u32 s21, 0
	s_cbranch_scc1 .LBB1_195
; %bb.192:                              ;   in Loop: Header=BB1_143 Depth=1
	s_mov_b64 s[16:17], 0
	v_pk_mov_b32 v[26:27], 0, 0
	s_mov_b64 s[18:19], s[4:5]
.LBB1_193:                              ;   Parent Loop BB1_143 Depth=1
                                        ; =>  This Inner Loop Header: Depth=2
	global_load_ubyte v3, v33, s[18:19]
	s_add_i32 s21, s21, -1
	s_waitcnt vmcnt(0)
	v_and_b32_e32 v32, 0xffff, v3
	v_lshlrev_b64 v[8:9], s16, v[32:33]
	s_add_u32 s16, s16, 8
	s_addc_u32 s17, s17, 0
	s_add_u32 s18, s18, 1
	s_addc_u32 s19, s19, 0
	v_or_b32_e32 v26, v8, v26
	s_cmp_lg_u32 s21, 0
	v_or_b32_e32 v27, v9, v27
	s_cbranch_scc1 .LBB1_193
	s_branch .LBB1_196
.LBB1_194:                              ;   in Loop: Header=BB1_143 Depth=1
	s_branch .LBB1_197
.LBB1_195:                              ;   in Loop: Header=BB1_143 Depth=1
	v_pk_mov_b32 v[26:27], 0, 0
.LBB1_196:                              ;   in Loop: Header=BB1_143 Depth=1
	s_cbranch_execnz .LBB1_198
.LBB1_197:                              ;   in Loop: Header=BB1_143 Depth=1
	global_load_dwordx2 v[26:27], v33, s[4:5]
.LBB1_198:                              ;   in Loop: Header=BB1_143 Depth=1
	v_readfirstlane_b32 s4, v37
	v_cmp_eq_u32_e64 s[4:5], s4, v37
	s_waitcnt vmcnt(0)
	v_pk_mov_b32 v[8:9], 0, 0
	s_and_saveexec_b64 s[16:17], s[4:5]
	s_cbranch_execz .LBB1_204
; %bb.199:                              ;   in Loop: Header=BB1_143 Depth=1
	global_load_dwordx2 v[30:31], v33, s[10:11] offset:24 glc
	s_waitcnt vmcnt(0)
	buffer_invl2
	buffer_wbinvl1_vol
	global_load_dwordx2 v[8:9], v33, s[10:11] offset:40
	global_load_dwordx2 v[12:13], v33, s[10:11]
	s_waitcnt vmcnt(1)
	v_and_b32_e32 v3, v8, v30
	v_and_b32_e32 v8, v9, v31
	v_mul_lo_u32 v8, v8, 24
	v_mul_hi_u32 v9, v3, 24
	v_mul_lo_u32 v3, v3, 24
	v_add_u32_e32 v9, v9, v8
	s_waitcnt vmcnt(0)
	v_add_co_u32_e32 v8, vcc, v12, v3
	v_addc_co_u32_e32 v9, vcc, v13, v9, vcc
	global_load_dwordx2 v[28:29], v[8:9], off glc
	s_waitcnt vmcnt(0)
	global_atomic_cmpswap_x2 v[8:9], v33, v[28:31], s[10:11] offset:24 glc
	s_waitcnt vmcnt(0)
	buffer_invl2
	buffer_wbinvl1_vol
	v_cmp_ne_u64_e32 vcc, v[8:9], v[30:31]
	s_and_saveexec_b64 s[18:19], vcc
	s_cbranch_execz .LBB1_203
; %bb.200:                              ;   in Loop: Header=BB1_143 Depth=1
	s_mov_b64 s[20:21], 0
.LBB1_201:                              ;   Parent Loop BB1_143 Depth=1
                                        ; =>  This Inner Loop Header: Depth=2
	s_sleep 1
	global_load_dwordx2 v[12:13], v33, s[10:11] offset:40
	global_load_dwordx2 v[28:29], v33, s[10:11]
	v_pk_mov_b32 v[30:31], v[8:9], v[8:9] op_sel:[0,1]
	s_waitcnt vmcnt(1)
	v_and_b32_e32 v8, v12, v30
	s_waitcnt vmcnt(0)
	v_mad_u64_u32 v[8:9], s[22:23], v8, 24, v[28:29]
	v_and_b32_e32 v3, v13, v31
	v_mov_b32_e32 v12, v9
	v_mad_u64_u32 v[12:13], s[22:23], v3, 24, v[12:13]
	v_mov_b32_e32 v9, v12
	global_load_dwordx2 v[28:29], v[8:9], off glc
	s_waitcnt vmcnt(0)
	global_atomic_cmpswap_x2 v[8:9], v33, v[28:31], s[10:11] offset:24 glc
	s_waitcnt vmcnt(0)
	buffer_invl2
	buffer_wbinvl1_vol
	v_cmp_eq_u64_e32 vcc, v[8:9], v[30:31]
	s_or_b64 s[20:21], vcc, s[20:21]
	s_andn2_b64 exec, exec, s[20:21]
	s_cbranch_execnz .LBB1_201
; %bb.202:                              ;   in Loop: Header=BB1_143 Depth=1
	s_or_b64 exec, exec, s[20:21]
.LBB1_203:                              ;   in Loop: Header=BB1_143 Depth=1
	s_or_b64 exec, exec, s[18:19]
.LBB1_204:                              ;   in Loop: Header=BB1_143 Depth=1
	s_or_b64 exec, exec, s[16:17]
	global_load_dwordx2 v[12:13], v33, s[10:11] offset:40
	global_load_dwordx4 v[28:31], v33, s[10:11]
	v_readfirstlane_b32 s16, v8
	v_readfirstlane_b32 s17, v9
	s_mov_b64 s[18:19], exec
	s_waitcnt vmcnt(1)
	v_readfirstlane_b32 s20, v12
	v_readfirstlane_b32 s21, v13
	s_and_b64 s[20:21], s[16:17], s[20:21]
	s_mul_i32 s22, s21, 24
	s_mul_hi_u32 s23, s20, 24
	s_mul_i32 s24, s20, 24
	s_add_i32 s22, s23, s22
	v_mov_b32_e32 v3, s22
	s_waitcnt vmcnt(0)
	v_add_co_u32_e32 v34, vcc, s24, v28
	v_addc_co_u32_e32 v35, vcc, v29, v3, vcc
	s_and_saveexec_b64 s[22:23], s[4:5]
	s_cbranch_execz .LBB1_206
; %bb.205:                              ;   in Loop: Header=BB1_143 Depth=1
	v_pk_mov_b32 v[8:9], s[18:19], s[18:19] op_sel:[0,1]
	global_store_dwordx4 v[34:35], v[8:11], off offset:8
.LBB1_206:                              ;   in Loop: Header=BB1_143 Depth=1
	s_or_b64 exec, exec, s[22:23]
	s_lshl_b64 s[18:19], s[20:21], 12
	v_mov_b32_e32 v3, s19
	v_add_co_u32_e32 v30, vcc, s18, v30
	v_addc_co_u32_e32 v3, vcc, v31, v3, vcc
	v_or_b32_e32 v9, v6, v2
	v_cmp_gt_u64_e64 vcc, s[12:13], 56
	s_lshl_b32 s18, s14, 2
	v_cndmask_b32_e32 v6, v9, v6, vcc
	s_add_i32 s18, s18, 28
	v_or_b32_e32 v8, 0, v7
	s_and_b32 s18, s18, 0x1e0
	v_and_b32_e32 v6, 0xffffff1f, v6
	v_cndmask_b32_e32 v13, v8, v7, vcc
	v_or_b32_e32 v12, s18, v6
	v_readfirstlane_b32 s18, v30
	v_readfirstlane_b32 s19, v3
	s_nop 4
	global_store_dwordx4 v36, v[12:15], s[18:19]
	global_store_dwordx4 v36, v[16:19], s[18:19] offset:16
	global_store_dwordx4 v36, v[20:23], s[18:19] offset:32
	global_store_dwordx4 v36, v[24:27], s[18:19] offset:48
	s_and_saveexec_b64 s[18:19], s[4:5]
	s_cbranch_execz .LBB1_214
; %bb.207:                              ;   in Loop: Header=BB1_143 Depth=1
	global_load_dwordx2 v[16:17], v33, s[10:11] offset:32 glc
	global_load_dwordx2 v[6:7], v33, s[10:11] offset:40
	v_mov_b32_e32 v14, s16
	v_mov_b32_e32 v15, s17
	s_waitcnt vmcnt(0)
	v_readfirstlane_b32 s20, v6
	v_readfirstlane_b32 s21, v7
	s_and_b64 s[20:21], s[20:21], s[16:17]
	s_mul_i32 s21, s21, 24
	s_mul_hi_u32 s22, s20, 24
	s_mul_i32 s20, s20, 24
	s_add_i32 s21, s22, s21
	v_mov_b32_e32 v6, s21
	v_add_co_u32_e32 v12, vcc, s20, v28
	v_addc_co_u32_e32 v13, vcc, v29, v6, vcc
	global_store_dwordx2 v[12:13], v[16:17], off
	buffer_wbl2
	s_waitcnt vmcnt(0)
	global_atomic_cmpswap_x2 v[8:9], v33, v[14:17], s[10:11] offset:32 glc
	s_waitcnt vmcnt(0)
	v_cmp_ne_u64_e32 vcc, v[8:9], v[16:17]
	s_and_saveexec_b64 s[20:21], vcc
	s_cbranch_execz .LBB1_210
; %bb.208:                              ;   in Loop: Header=BB1_143 Depth=1
	s_mov_b64 s[22:23], 0
.LBB1_209:                              ;   Parent Loop BB1_143 Depth=1
                                        ; =>  This Inner Loop Header: Depth=2
	s_sleep 1
	global_store_dwordx2 v[12:13], v[8:9], off
	v_mov_b32_e32 v6, s16
	v_mov_b32_e32 v7, s17
	buffer_wbl2
	s_waitcnt vmcnt(0)
	global_atomic_cmpswap_x2 v[6:7], v33, v[6:9], s[10:11] offset:32 glc
	s_waitcnt vmcnt(0)
	v_cmp_eq_u64_e32 vcc, v[6:7], v[8:9]
	s_or_b64 s[22:23], vcc, s[22:23]
	v_pk_mov_b32 v[8:9], v[6:7], v[6:7] op_sel:[0,1]
	s_andn2_b64 exec, exec, s[22:23]
	s_cbranch_execnz .LBB1_209
.LBB1_210:                              ;   in Loop: Header=BB1_143 Depth=1
	s_or_b64 exec, exec, s[20:21]
	global_load_dwordx2 v[6:7], v33, s[10:11] offset:16
	s_mov_b64 s[22:23], exec
	v_mbcnt_lo_u32_b32 v8, s22, 0
	v_mbcnt_hi_u32_b32 v8, s23, v8
	v_cmp_eq_u32_e32 vcc, 0, v8
	s_and_saveexec_b64 s[20:21], vcc
	s_cbranch_execz .LBB1_212
; %bb.211:                              ;   in Loop: Header=BB1_143 Depth=1
	s_bcnt1_i32_b64 s22, s[22:23]
	v_mov_b32_e32 v32, s22
	buffer_wbl2
	s_waitcnt vmcnt(0)
	global_atomic_add_x2 v[6:7], v[32:33], off offset:8
.LBB1_212:                              ;   in Loop: Header=BB1_143 Depth=1
	s_or_b64 exec, exec, s[20:21]
	s_waitcnt vmcnt(0)
	global_load_dwordx2 v[8:9], v[6:7], off offset:16
	s_waitcnt vmcnt(0)
	v_cmp_eq_u64_e32 vcc, 0, v[8:9]
	s_cbranch_vccnz .LBB1_214
; %bb.213:                              ;   in Loop: Header=BB1_143 Depth=1
	global_load_dword v32, v[6:7], off offset:24
	s_waitcnt vmcnt(0)
	v_and_b32_e32 v6, 0xffffff, v32
	v_readfirstlane_b32 m0, v6
	buffer_wbl2
	global_store_dwordx2 v[8:9], v[32:33], off
	s_sendmsg sendmsg(MSG_INTERRUPT)
.LBB1_214:                              ;   in Loop: Header=BB1_143 Depth=1
	s_or_b64 exec, exec, s[18:19]
	v_add_co_u32_e32 v6, vcc, v30, v36
	v_addc_co_u32_e32 v7, vcc, 0, v3, vcc
	s_branch .LBB1_218
.LBB1_215:                              ;   in Loop: Header=BB1_218 Depth=2
	s_or_b64 exec, exec, s[18:19]
	v_readfirstlane_b32 s18, v3
	s_cmp_eq_u32 s18, 0
	s_cbranch_scc1 .LBB1_217
; %bb.216:                              ;   in Loop: Header=BB1_218 Depth=2
	s_sleep 1
	s_cbranch_execnz .LBB1_218
	s_branch .LBB1_220
.LBB1_217:                              ;   in Loop: Header=BB1_143 Depth=1
	s_branch .LBB1_220
.LBB1_218:                              ;   Parent Loop BB1_143 Depth=1
                                        ; =>  This Inner Loop Header: Depth=2
	v_mov_b32_e32 v3, 1
	s_and_saveexec_b64 s[18:19], s[4:5]
	s_cbranch_execz .LBB1_215
; %bb.219:                              ;   in Loop: Header=BB1_218 Depth=2
	global_load_dword v3, v[34:35], off offset:20 glc
	s_waitcnt vmcnt(0)
	buffer_invl2
	buffer_wbinvl1_vol
	v_and_b32_e32 v3, 1, v3
	s_branch .LBB1_215
.LBB1_220:                              ;   in Loop: Header=BB1_143 Depth=1
	global_load_dwordx4 v[6:9], v[6:7], off
	s_and_saveexec_b64 s[18:19], s[4:5]
	s_cbranch_execz .LBB1_142
; %bb.221:                              ;   in Loop: Header=BB1_143 Depth=1
	global_load_dwordx2 v[8:9], v33, s[10:11] offset:40
	global_load_dwordx2 v[16:17], v33, s[10:11] offset:24 glc
	global_load_dwordx2 v[18:19], v33, s[10:11]
	v_mov_b32_e32 v3, s17
	s_waitcnt vmcnt(2)
	v_add_co_u32_e32 v15, vcc, 1, v8
	v_addc_co_u32_e32 v20, vcc, 0, v9, vcc
	v_add_co_u32_e32 v12, vcc, s16, v15
	v_addc_co_u32_e32 v13, vcc, v20, v3, vcc
	v_cmp_eq_u64_e32 vcc, 0, v[12:13]
	v_cndmask_b32_e32 v13, v13, v20, vcc
	v_cndmask_b32_e32 v12, v12, v15, vcc
	v_and_b32_e32 v3, v13, v9
	v_and_b32_e32 v8, v12, v8
	v_mul_lo_u32 v3, v3, 24
	v_mul_hi_u32 v9, v8, 24
	v_mul_lo_u32 v8, v8, 24
	v_add_u32_e32 v3, v9, v3
	s_waitcnt vmcnt(0)
	v_add_co_u32_e32 v8, vcc, v18, v8
	v_addc_co_u32_e32 v9, vcc, v19, v3, vcc
	v_mov_b32_e32 v14, v16
	global_store_dwordx2 v[8:9], v[16:17], off
	v_mov_b32_e32 v15, v17
	buffer_wbl2
	s_waitcnt vmcnt(0)
	global_atomic_cmpswap_x2 v[14:15], v33, v[12:15], s[10:11] offset:24 glc
	s_waitcnt vmcnt(0)
	v_cmp_ne_u64_e32 vcc, v[14:15], v[16:17]
	s_and_b64 exec, exec, vcc
	s_cbranch_execz .LBB1_142
; %bb.222:                              ;   in Loop: Header=BB1_143 Depth=1
	s_mov_b64 s[4:5], 0
.LBB1_223:                              ;   Parent Loop BB1_143 Depth=1
                                        ; =>  This Inner Loop Header: Depth=2
	s_sleep 1
	global_store_dwordx2 v[8:9], v[14:15], off
	buffer_wbl2
	s_waitcnt vmcnt(0)
	global_atomic_cmpswap_x2 v[16:17], v33, v[12:15], s[10:11] offset:24 glc
	s_waitcnt vmcnt(0)
	v_cmp_eq_u64_e32 vcc, v[16:17], v[14:15]
	s_or_b64 s[4:5], vcc, s[4:5]
	v_pk_mov_b32 v[14:15], v[16:17], v[16:17] op_sel:[0,1]
	s_andn2_b64 exec, exec, s[4:5]
	s_cbranch_execnz .LBB1_223
	s_branch .LBB1_142
.LBB1_224:
                                        ; implicit-def: $vgpr6_vgpr7
	s_cbranch_execnz .LBB1_226
	s_branch .LBB1_252
.LBB1_225:
	s_branch .LBB1_252
.LBB1_226:
	v_readfirstlane_b32 s4, v37
	v_cmp_eq_u32_e64 s[4:5], s4, v37
	v_pk_mov_b32 v[10:11], 0, 0
	s_and_saveexec_b64 s[6:7], s[4:5]
	s_cbranch_execz .LBB1_232
; %bb.227:
	s_waitcnt vmcnt(0)
	v_mov_b32_e32 v2, 0
	global_load_dwordx2 v[8:9], v2, s[10:11] offset:24 glc
	s_waitcnt vmcnt(0)
	buffer_invl2
	buffer_wbinvl1_vol
	global_load_dwordx2 v[6:7], v2, s[10:11] offset:40
	global_load_dwordx2 v[10:11], v2, s[10:11]
	s_waitcnt vmcnt(1)
	v_and_b32_e32 v3, v6, v8
	v_and_b32_e32 v6, v7, v9
	v_mul_lo_u32 v6, v6, 24
	v_mul_hi_u32 v7, v3, 24
	v_mul_lo_u32 v3, v3, 24
	v_add_u32_e32 v7, v7, v6
	s_waitcnt vmcnt(0)
	v_add_co_u32_e32 v6, vcc, v10, v3
	v_addc_co_u32_e32 v7, vcc, v11, v7, vcc
	global_load_dwordx2 v[6:7], v[6:7], off glc
	s_waitcnt vmcnt(0)
	global_atomic_cmpswap_x2 v[10:11], v2, v[6:9], s[10:11] offset:24 glc
	s_waitcnt vmcnt(0)
	buffer_invl2
	buffer_wbinvl1_vol
	v_cmp_ne_u64_e32 vcc, v[10:11], v[8:9]
	s_and_saveexec_b64 s[12:13], vcc
	s_cbranch_execz .LBB1_231
; %bb.228:
	s_mov_b64 s[14:15], 0
.LBB1_229:                              ; =>This Inner Loop Header: Depth=1
	s_sleep 1
	global_load_dwordx2 v[6:7], v2, s[10:11] offset:40
	global_load_dwordx2 v[12:13], v2, s[10:11]
	v_pk_mov_b32 v[8:9], v[10:11], v[10:11] op_sel:[0,1]
	s_waitcnt vmcnt(1)
	v_and_b32_e32 v6, v6, v8
	v_and_b32_e32 v3, v7, v9
	s_waitcnt vmcnt(0)
	v_mad_u64_u32 v[6:7], s[16:17], v6, 24, v[12:13]
	v_mov_b32_e32 v10, v7
	v_mad_u64_u32 v[10:11], s[16:17], v3, 24, v[10:11]
	v_mov_b32_e32 v7, v10
	global_load_dwordx2 v[6:7], v[6:7], off glc
	s_waitcnt vmcnt(0)
	global_atomic_cmpswap_x2 v[10:11], v2, v[6:9], s[10:11] offset:24 glc
	s_waitcnt vmcnt(0)
	buffer_invl2
	buffer_wbinvl1_vol
	v_cmp_eq_u64_e32 vcc, v[10:11], v[8:9]
	s_or_b64 s[14:15], vcc, s[14:15]
	s_andn2_b64 exec, exec, s[14:15]
	s_cbranch_execnz .LBB1_229
; %bb.230:
	s_or_b64 exec, exec, s[14:15]
.LBB1_231:
	s_or_b64 exec, exec, s[12:13]
.LBB1_232:
	s_or_b64 exec, exec, s[6:7]
	s_waitcnt vmcnt(0)
	v_mov_b32_e32 v2, 0
	global_load_dwordx2 v[12:13], v2, s[10:11] offset:40
	global_load_dwordx4 v[6:9], v2, s[10:11]
	v_readfirstlane_b32 s6, v10
	v_readfirstlane_b32 s7, v11
	s_mov_b64 s[12:13], exec
	s_waitcnt vmcnt(1)
	v_readfirstlane_b32 s14, v12
	v_readfirstlane_b32 s15, v13
	s_and_b64 s[14:15], s[6:7], s[14:15]
	s_mul_i32 s16, s15, 24
	s_mul_hi_u32 s17, s14, 24
	s_mul_i32 s18, s14, 24
	s_add_i32 s16, s17, s16
	v_mov_b32_e32 v3, s16
	s_waitcnt vmcnt(0)
	v_add_co_u32_e32 v10, vcc, s18, v6
	v_addc_co_u32_e32 v11, vcc, v7, v3, vcc
	s_and_saveexec_b64 s[16:17], s[4:5]
	s_cbranch_execz .LBB1_234
; %bb.233:
	v_pk_mov_b32 v[12:13], s[12:13], s[12:13] op_sel:[0,1]
	v_mov_b32_e32 v14, 2
	v_mov_b32_e32 v15, 1
	global_store_dwordx4 v[10:11], v[12:15], off offset:8
.LBB1_234:
	s_or_b64 exec, exec, s[16:17]
	s_lshl_b64 s[12:13], s[14:15], 12
	v_mov_b32_e32 v3, s13
	v_add_co_u32_e32 v12, vcc, s12, v8
	s_movk_i32 s12, 0xff1f
	v_addc_co_u32_e32 v13, vcc, v9, v3, vcc
	v_and_or_b32 v0, v0, s12, 32
	s_mov_b32 s12, 0
	v_mov_b32_e32 v3, v2
	v_readfirstlane_b32 s16, v12
	v_readfirstlane_b32 s17, v13
	s_mov_b32 s13, s12
	v_add_co_u32_e32 v8, vcc, v12, v36
	s_mov_b32 s14, s12
	s_mov_b32 s15, s12
	s_nop 0
	global_store_dwordx4 v36, v[0:3], s[16:17]
	v_addc_co_u32_e32 v9, vcc, 0, v13, vcc
	v_pk_mov_b32 v[0:1], s[12:13], s[12:13] op_sel:[0,1]
	v_pk_mov_b32 v[2:3], s[14:15], s[14:15] op_sel:[0,1]
	global_store_dwordx4 v36, v[0:3], s[16:17] offset:16
	global_store_dwordx4 v36, v[0:3], s[16:17] offset:32
	;; [unrolled: 1-line block ×3, first 2 shown]
	s_and_saveexec_b64 s[12:13], s[4:5]
	s_cbranch_execz .LBB1_242
; %bb.235:
	v_mov_b32_e32 v12, 0
	global_load_dwordx2 v[16:17], v12, s[10:11] offset:32 glc
	global_load_dwordx2 v[0:1], v12, s[10:11] offset:40
	v_mov_b32_e32 v14, s6
	v_mov_b32_e32 v15, s7
	s_waitcnt vmcnt(0)
	v_readfirstlane_b32 s14, v0
	v_readfirstlane_b32 s15, v1
	s_and_b64 s[14:15], s[14:15], s[6:7]
	s_mul_i32 s15, s15, 24
	s_mul_hi_u32 s16, s14, 24
	s_mul_i32 s14, s14, 24
	s_add_i32 s15, s16, s15
	v_mov_b32_e32 v0, s15
	v_add_co_u32_e32 v6, vcc, s14, v6
	v_addc_co_u32_e32 v7, vcc, v7, v0, vcc
	global_store_dwordx2 v[6:7], v[16:17], off
	buffer_wbl2
	s_waitcnt vmcnt(0)
	global_atomic_cmpswap_x2 v[2:3], v12, v[14:17], s[10:11] offset:32 glc
	s_waitcnt vmcnt(0)
	v_cmp_ne_u64_e32 vcc, v[2:3], v[16:17]
	s_and_saveexec_b64 s[14:15], vcc
	s_cbranch_execz .LBB1_238
; %bb.236:
	s_mov_b64 s[16:17], 0
.LBB1_237:                              ; =>This Inner Loop Header: Depth=1
	s_sleep 1
	global_store_dwordx2 v[6:7], v[2:3], off
	v_mov_b32_e32 v0, s6
	v_mov_b32_e32 v1, s7
	buffer_wbl2
	s_waitcnt vmcnt(0)
	global_atomic_cmpswap_x2 v[0:1], v12, v[0:3], s[10:11] offset:32 glc
	s_waitcnt vmcnt(0)
	v_cmp_eq_u64_e32 vcc, v[0:1], v[2:3]
	s_or_b64 s[16:17], vcc, s[16:17]
	v_pk_mov_b32 v[2:3], v[0:1], v[0:1] op_sel:[0,1]
	s_andn2_b64 exec, exec, s[16:17]
	s_cbranch_execnz .LBB1_237
.LBB1_238:
	s_or_b64 exec, exec, s[14:15]
	v_mov_b32_e32 v3, 0
	global_load_dwordx2 v[0:1], v3, s[10:11] offset:16
	s_mov_b64 s[14:15], exec
	v_mbcnt_lo_u32_b32 v2, s14, 0
	v_mbcnt_hi_u32_b32 v2, s15, v2
	v_cmp_eq_u32_e32 vcc, 0, v2
	s_and_saveexec_b64 s[16:17], vcc
	s_cbranch_execz .LBB1_240
; %bb.239:
	s_bcnt1_i32_b64 s14, s[14:15]
	v_mov_b32_e32 v2, s14
	buffer_wbl2
	s_waitcnt vmcnt(0)
	global_atomic_add_x2 v[0:1], v[2:3], off offset:8
.LBB1_240:
	s_or_b64 exec, exec, s[16:17]
	s_waitcnt vmcnt(0)
	global_load_dwordx2 v[2:3], v[0:1], off offset:16
	s_waitcnt vmcnt(0)
	v_cmp_eq_u64_e32 vcc, 0, v[2:3]
	s_cbranch_vccnz .LBB1_242
; %bb.241:
	global_load_dword v0, v[0:1], off offset:24
	v_mov_b32_e32 v1, 0
	buffer_wbl2
	s_waitcnt vmcnt(0)
	global_store_dwordx2 v[2:3], v[0:1], off
	v_and_b32_e32 v0, 0xffffff, v0
	v_readfirstlane_b32 m0, v0
	s_sendmsg sendmsg(MSG_INTERRUPT)
.LBB1_242:
	s_or_b64 exec, exec, s[12:13]
	s_branch .LBB1_246
.LBB1_243:                              ;   in Loop: Header=BB1_246 Depth=1
	s_or_b64 exec, exec, s[12:13]
	v_readfirstlane_b32 s12, v0
	s_cmp_eq_u32 s12, 0
	s_cbranch_scc1 .LBB1_245
; %bb.244:                              ;   in Loop: Header=BB1_246 Depth=1
	s_sleep 1
	s_cbranch_execnz .LBB1_246
	s_branch .LBB1_248
.LBB1_245:
	s_branch .LBB1_248
.LBB1_246:                              ; =>This Inner Loop Header: Depth=1
	v_mov_b32_e32 v0, 1
	s_and_saveexec_b64 s[12:13], s[4:5]
	s_cbranch_execz .LBB1_243
; %bb.247:                              ;   in Loop: Header=BB1_246 Depth=1
	global_load_dword v0, v[10:11], off offset:20 glc
	s_waitcnt vmcnt(0)
	buffer_invl2
	buffer_wbinvl1_vol
	v_and_b32_e32 v0, 1, v0
	s_branch .LBB1_243
.LBB1_248:
	global_load_dwordx2 v[6:7], v[8:9], off
	s_and_saveexec_b64 s[12:13], s[4:5]
	s_cbranch_execz .LBB1_251
; %bb.249:
	v_mov_b32_e32 v10, 0
	global_load_dwordx2 v[8:9], v10, s[10:11] offset:40
	global_load_dwordx2 v[12:13], v10, s[10:11] offset:24 glc
	global_load_dwordx2 v[14:15], v10, s[10:11]
	v_mov_b32_e32 v1, s7
	s_mov_b64 s[4:5], 0
	s_waitcnt vmcnt(2)
	v_add_co_u32_e32 v3, vcc, 1, v8
	v_addc_co_u32_e32 v11, vcc, 0, v9, vcc
	v_add_co_u32_e32 v0, vcc, s6, v3
	v_addc_co_u32_e32 v1, vcc, v11, v1, vcc
	v_cmp_eq_u64_e32 vcc, 0, v[0:1]
	v_cndmask_b32_e32 v1, v1, v11, vcc
	v_cndmask_b32_e32 v0, v0, v3, vcc
	v_and_b32_e32 v3, v1, v9
	v_and_b32_e32 v8, v0, v8
	v_mul_lo_u32 v3, v3, 24
	v_mul_hi_u32 v9, v8, 24
	v_mul_lo_u32 v8, v8, 24
	v_add_u32_e32 v3, v9, v3
	s_waitcnt vmcnt(0)
	v_add_co_u32_e32 v8, vcc, v14, v8
	v_addc_co_u32_e32 v9, vcc, v15, v3, vcc
	v_mov_b32_e32 v2, v12
	global_store_dwordx2 v[8:9], v[12:13], off
	v_mov_b32_e32 v3, v13
	buffer_wbl2
	s_waitcnt vmcnt(0)
	global_atomic_cmpswap_x2 v[2:3], v10, v[0:3], s[10:11] offset:24 glc
	s_waitcnt vmcnt(0)
	v_cmp_ne_u64_e32 vcc, v[2:3], v[12:13]
	s_and_b64 exec, exec, vcc
	s_cbranch_execz .LBB1_251
.LBB1_250:                              ; =>This Inner Loop Header: Depth=1
	s_sleep 1
	global_store_dwordx2 v[8:9], v[2:3], off
	buffer_wbl2
	s_waitcnt vmcnt(0)
	global_atomic_cmpswap_x2 v[12:13], v10, v[0:3], s[10:11] offset:24 glc
	s_waitcnt vmcnt(0)
	v_cmp_eq_u64_e32 vcc, v[12:13], v[2:3]
	s_or_b64 s[4:5], vcc, s[4:5]
	v_pk_mov_b32 v[2:3], v[12:13], v[12:13] op_sel:[0,1]
	s_andn2_b64 exec, exec, s[4:5]
	s_cbranch_execnz .LBB1_250
.LBB1_251:
	s_or_b64 exec, exec, s[12:13]
.LBB1_252:
	v_readfirstlane_b32 s4, v37
	v_cmp_eq_u32_e64 s[4:5], s4, v37
	v_pk_mov_b32 v[10:11], 0, 0
	s_and_saveexec_b64 s[6:7], s[4:5]
	s_cbranch_execz .LBB1_258
; %bb.253:
	s_waitcnt vmcnt(0)
	v_mov_b32_e32 v0, 0
	global_load_dwordx2 v[12:13], v0, s[10:11] offset:24 glc
	s_waitcnt vmcnt(0)
	buffer_invl2
	buffer_wbinvl1_vol
	global_load_dwordx2 v[2:3], v0, s[10:11] offset:40
	global_load_dwordx2 v[8:9], v0, s[10:11]
	s_waitcnt vmcnt(1)
	v_and_b32_e32 v1, v2, v12
	v_and_b32_e32 v2, v3, v13
	v_mul_lo_u32 v2, v2, 24
	v_mul_hi_u32 v3, v1, 24
	v_mul_lo_u32 v1, v1, 24
	v_add_u32_e32 v3, v3, v2
	s_waitcnt vmcnt(0)
	v_add_co_u32_e32 v2, vcc, v8, v1
	v_addc_co_u32_e32 v3, vcc, v9, v3, vcc
	global_load_dwordx2 v[10:11], v[2:3], off glc
	s_waitcnt vmcnt(0)
	global_atomic_cmpswap_x2 v[10:11], v0, v[10:13], s[10:11] offset:24 glc
	s_waitcnt vmcnt(0)
	buffer_invl2
	buffer_wbinvl1_vol
	v_cmp_ne_u64_e32 vcc, v[10:11], v[12:13]
	s_and_saveexec_b64 s[12:13], vcc
	s_cbranch_execz .LBB1_257
; %bb.254:
	s_mov_b64 s[14:15], 0
.LBB1_255:                              ; =>This Inner Loop Header: Depth=1
	s_sleep 1
	global_load_dwordx2 v[2:3], v0, s[10:11] offset:40
	global_load_dwordx2 v[8:9], v0, s[10:11]
	v_pk_mov_b32 v[12:13], v[10:11], v[10:11] op_sel:[0,1]
	s_waitcnt vmcnt(1)
	v_and_b32_e32 v2, v2, v12
	v_and_b32_e32 v1, v3, v13
	s_waitcnt vmcnt(0)
	v_mad_u64_u32 v[2:3], s[16:17], v2, 24, v[8:9]
	v_mov_b32_e32 v8, v3
	v_mad_u64_u32 v[8:9], s[16:17], v1, 24, v[8:9]
	v_mov_b32_e32 v3, v8
	global_load_dwordx2 v[10:11], v[2:3], off glc
	s_waitcnt vmcnt(0)
	global_atomic_cmpswap_x2 v[10:11], v0, v[10:13], s[10:11] offset:24 glc
	s_waitcnt vmcnt(0)
	buffer_invl2
	buffer_wbinvl1_vol
	v_cmp_eq_u64_e32 vcc, v[10:11], v[12:13]
	s_or_b64 s[14:15], vcc, s[14:15]
	s_andn2_b64 exec, exec, s[14:15]
	s_cbranch_execnz .LBB1_255
; %bb.256:
	s_or_b64 exec, exec, s[14:15]
.LBB1_257:
	s_or_b64 exec, exec, s[12:13]
.LBB1_258:
	s_or_b64 exec, exec, s[6:7]
	s_waitcnt vmcnt(0)
	v_mov_b32_e32 v9, 0
	global_load_dwordx2 v[12:13], v9, s[10:11] offset:40
	global_load_dwordx4 v[0:3], v9, s[10:11]
	v_readfirstlane_b32 s6, v10
	v_readfirstlane_b32 s7, v11
	s_mov_b64 s[12:13], exec
	s_waitcnt vmcnt(1)
	v_readfirstlane_b32 s14, v12
	v_readfirstlane_b32 s15, v13
	s_and_b64 s[14:15], s[6:7], s[14:15]
	s_mul_i32 s16, s15, 24
	s_mul_hi_u32 s17, s14, 24
	s_mul_i32 s18, s14, 24
	s_add_i32 s16, s17, s16
	v_mov_b32_e32 v8, s16
	s_waitcnt vmcnt(0)
	v_add_co_u32_e32 v10, vcc, s18, v0
	v_addc_co_u32_e32 v11, vcc, v1, v8, vcc
	s_and_saveexec_b64 s[16:17], s[4:5]
	s_cbranch_execz .LBB1_260
; %bb.259:
	v_pk_mov_b32 v[12:13], s[12:13], s[12:13] op_sel:[0,1]
	v_mov_b32_e32 v14, 2
	v_mov_b32_e32 v15, 1
	global_store_dwordx4 v[10:11], v[12:15], off offset:8
.LBB1_260:
	s_or_b64 exec, exec, s[16:17]
	s_lshl_b64 s[12:13], s[14:15], 12
	v_mov_b32_e32 v8, s13
	v_add_co_u32_e32 v2, vcc, s12, v2
	s_movk_i32 s12, 0xff1f
	v_addc_co_u32_e32 v3, vcc, v3, v8, vcc
	v_and_or_b32 v6, v6, s12, 32
	s_mov_b32 s12, 0
	v_mov_b32_e32 v8, 0x331
	v_readfirstlane_b32 s16, v2
	v_readfirstlane_b32 s17, v3
	s_mov_b32 s13, s12
	v_add_co_u32_e32 v12, vcc, v2, v36
	s_mov_b32 s14, s12
	s_mov_b32 s15, s12
	s_nop 0
	global_store_dwordx4 v36, v[6:9], s[16:17]
	v_addc_co_u32_e32 v13, vcc, 0, v3, vcc
	v_pk_mov_b32 v[6:7], s[12:13], s[12:13] op_sel:[0,1]
	v_pk_mov_b32 v[8:9], s[14:15], s[14:15] op_sel:[0,1]
	global_store_dwordx4 v36, v[6:9], s[16:17] offset:16
	global_store_dwordx4 v36, v[6:9], s[16:17] offset:32
	;; [unrolled: 1-line block ×3, first 2 shown]
	s_and_saveexec_b64 s[12:13], s[4:5]
	s_cbranch_execz .LBB1_268
; %bb.261:
	v_mov_b32_e32 v8, 0
	global_load_dwordx2 v[16:17], v8, s[10:11] offset:32 glc
	global_load_dwordx2 v[2:3], v8, s[10:11] offset:40
	v_mov_b32_e32 v14, s6
	v_mov_b32_e32 v15, s7
	s_waitcnt vmcnt(0)
	v_readfirstlane_b32 s14, v2
	v_readfirstlane_b32 s15, v3
	s_and_b64 s[14:15], s[14:15], s[6:7]
	s_mul_i32 s15, s15, 24
	s_mul_hi_u32 s16, s14, 24
	s_mul_i32 s14, s14, 24
	s_add_i32 s15, s16, s15
	v_mov_b32_e32 v2, s15
	v_add_co_u32_e32 v6, vcc, s14, v0
	v_addc_co_u32_e32 v7, vcc, v1, v2, vcc
	global_store_dwordx2 v[6:7], v[16:17], off
	buffer_wbl2
	s_waitcnt vmcnt(0)
	global_atomic_cmpswap_x2 v[2:3], v8, v[14:17], s[10:11] offset:32 glc
	s_waitcnt vmcnt(0)
	v_cmp_ne_u64_e32 vcc, v[2:3], v[16:17]
	s_and_saveexec_b64 s[14:15], vcc
	s_cbranch_execz .LBB1_264
; %bb.262:
	s_mov_b64 s[16:17], 0
.LBB1_263:                              ; =>This Inner Loop Header: Depth=1
	s_sleep 1
	global_store_dwordx2 v[6:7], v[2:3], off
	v_mov_b32_e32 v0, s6
	v_mov_b32_e32 v1, s7
	buffer_wbl2
	s_waitcnt vmcnt(0)
	global_atomic_cmpswap_x2 v[0:1], v8, v[0:3], s[10:11] offset:32 glc
	s_waitcnt vmcnt(0)
	v_cmp_eq_u64_e32 vcc, v[0:1], v[2:3]
	s_or_b64 s[16:17], vcc, s[16:17]
	v_pk_mov_b32 v[2:3], v[0:1], v[0:1] op_sel:[0,1]
	s_andn2_b64 exec, exec, s[16:17]
	s_cbranch_execnz .LBB1_263
.LBB1_264:
	s_or_b64 exec, exec, s[14:15]
	v_mov_b32_e32 v3, 0
	global_load_dwordx2 v[0:1], v3, s[10:11] offset:16
	s_mov_b64 s[14:15], exec
	v_mbcnt_lo_u32_b32 v2, s14, 0
	v_mbcnt_hi_u32_b32 v2, s15, v2
	v_cmp_eq_u32_e32 vcc, 0, v2
	s_and_saveexec_b64 s[16:17], vcc
	s_cbranch_execz .LBB1_266
; %bb.265:
	s_bcnt1_i32_b64 s14, s[14:15]
	v_mov_b32_e32 v2, s14
	buffer_wbl2
	s_waitcnt vmcnt(0)
	global_atomic_add_x2 v[0:1], v[2:3], off offset:8
.LBB1_266:
	s_or_b64 exec, exec, s[16:17]
	s_waitcnt vmcnt(0)
	global_load_dwordx2 v[2:3], v[0:1], off offset:16
	s_waitcnt vmcnt(0)
	v_cmp_eq_u64_e32 vcc, 0, v[2:3]
	s_cbranch_vccnz .LBB1_268
; %bb.267:
	global_load_dword v0, v[0:1], off offset:24
	v_mov_b32_e32 v1, 0
	buffer_wbl2
	s_waitcnt vmcnt(0)
	global_store_dwordx2 v[2:3], v[0:1], off
	v_and_b32_e32 v0, 0xffffff, v0
	v_readfirstlane_b32 m0, v0
	s_sendmsg sendmsg(MSG_INTERRUPT)
.LBB1_268:
	s_or_b64 exec, exec, s[12:13]
	s_branch .LBB1_272
.LBB1_269:                              ;   in Loop: Header=BB1_272 Depth=1
	s_or_b64 exec, exec, s[12:13]
	v_readfirstlane_b32 s12, v0
	s_cmp_eq_u32 s12, 0
	s_cbranch_scc1 .LBB1_271
; %bb.270:                              ;   in Loop: Header=BB1_272 Depth=1
	s_sleep 1
	s_cbranch_execnz .LBB1_272
	s_branch .LBB1_274
.LBB1_271:
	s_branch .LBB1_274
.LBB1_272:                              ; =>This Inner Loop Header: Depth=1
	v_mov_b32_e32 v0, 1
	s_and_saveexec_b64 s[12:13], s[4:5]
	s_cbranch_execz .LBB1_269
; %bb.273:                              ;   in Loop: Header=BB1_272 Depth=1
	global_load_dword v0, v[10:11], off offset:20 glc
	s_waitcnt vmcnt(0)
	buffer_invl2
	buffer_wbinvl1_vol
	v_and_b32_e32 v0, 1, v0
	s_branch .LBB1_269
.LBB1_274:
	global_load_dwordx2 v[0:1], v[12:13], off
	s_and_saveexec_b64 s[12:13], s[4:5]
	s_cbranch_execz .LBB1_277
; %bb.275:
	v_mov_b32_e32 v10, 0
	global_load_dwordx2 v[2:3], v10, s[10:11] offset:40
	global_load_dwordx2 v[12:13], v10, s[10:11] offset:24 glc
	global_load_dwordx2 v[14:15], v10, s[10:11]
	v_mov_b32_e32 v7, s7
	s_mov_b64 s[4:5], 0
	s_waitcnt vmcnt(2)
	v_add_co_u32_e32 v9, vcc, 1, v2
	v_addc_co_u32_e32 v11, vcc, 0, v3, vcc
	v_add_co_u32_e32 v6, vcc, s6, v9
	v_addc_co_u32_e32 v7, vcc, v11, v7, vcc
	v_cmp_eq_u64_e32 vcc, 0, v[6:7]
	v_cndmask_b32_e32 v7, v7, v11, vcc
	v_cndmask_b32_e32 v6, v6, v9, vcc
	v_and_b32_e32 v3, v7, v3
	v_and_b32_e32 v2, v6, v2
	v_mul_lo_u32 v3, v3, 24
	v_mul_hi_u32 v9, v2, 24
	v_mul_lo_u32 v2, v2, 24
	v_add_u32_e32 v3, v9, v3
	s_waitcnt vmcnt(0)
	v_add_co_u32_e32 v2, vcc, v14, v2
	v_addc_co_u32_e32 v3, vcc, v15, v3, vcc
	v_mov_b32_e32 v8, v12
	global_store_dwordx2 v[2:3], v[12:13], off
	v_mov_b32_e32 v9, v13
	buffer_wbl2
	s_waitcnt vmcnt(0)
	global_atomic_cmpswap_x2 v[8:9], v10, v[6:9], s[10:11] offset:24 glc
	s_waitcnt vmcnt(0)
	v_cmp_ne_u64_e32 vcc, v[8:9], v[12:13]
	s_and_b64 exec, exec, vcc
	s_cbranch_execz .LBB1_277
.LBB1_276:                              ; =>This Inner Loop Header: Depth=1
	s_sleep 1
	global_store_dwordx2 v[2:3], v[8:9], off
	buffer_wbl2
	s_waitcnt vmcnt(0)
	global_atomic_cmpswap_x2 v[12:13], v10, v[6:9], s[10:11] offset:24 glc
	s_waitcnt vmcnt(0)
	v_cmp_eq_u64_e32 vcc, v[12:13], v[8:9]
	s_or_b64 s[4:5], vcc, s[4:5]
	v_pk_mov_b32 v[8:9], v[12:13], v[12:13] op_sel:[0,1]
	s_andn2_b64 exec, exec, s[4:5]
	s_cbranch_execnz .LBB1_276
.LBB1_277:
	s_or_b64 exec, exec, s[12:13]
	s_mov_b64 s[4:5], 0
	v_pk_mov_b32 v[6:7], v[4:5], v[4:5] op_sel:[0,1]
.LBB1_278:                              ; =>This Inner Loop Header: Depth=1
	flat_load_ubyte v8, v[6:7]
	v_add_co_u32_e32 v2, vcc, 1, v6
	v_addc_co_u32_e32 v3, vcc, 0, v7, vcc
	v_pk_mov_b32 v[6:7], v[2:3], v[2:3] op_sel:[0,1]
	s_waitcnt vmcnt(0) lgkmcnt(0)
	v_cmp_eq_u16_e32 vcc, 0, v8
	s_or_b64 s[4:5], vcc, s[4:5]
	s_andn2_b64 exec, exec, s[4:5]
	s_cbranch_execnz .LBB1_278
; %bb.279:
	s_or_b64 exec, exec, s[4:5]
	s_mov_b64 s[6:7], 0
	v_cmp_ne_u64_e32 vcc, 0, v[4:5]
	s_and_saveexec_b64 s[4:5], vcc
	s_xor_b64 s[12:13], exec, s[4:5]
	s_cbranch_execz .LBB1_365
; %bb.280:
	v_sub_u32_e32 v26, v2, v4
	v_ashrrev_i32_e32 v27, 31, v26
	v_and_b32_e32 v28, 2, v0
	v_mov_b32_e32 v31, 0
	v_and_b32_e32 v0, -3, v0
	s_mov_b32 s22, 0
	s_movk_i32 s23, 0xff1f
	v_mov_b32_e32 v8, 2
	v_mov_b32_e32 v9, 1
	s_branch .LBB1_282
.LBB1_281:                              ;   in Loop: Header=BB1_282 Depth=1
	s_or_b64 exec, exec, s[16:17]
	v_sub_co_u32_e32 v26, vcc, v26, v32
	v_subb_co_u32_e32 v27, vcc, v27, v33, vcc
	v_cmp_eq_u64_e32 vcc, 0, v[26:27]
	s_or_b64 s[6:7], vcc, s[6:7]
	v_add_co_u32_e32 v4, vcc, v4, v32
	v_addc_co_u32_e32 v5, vcc, v5, v33, vcc
	s_andn2_b64 exec, exec, s[6:7]
	s_cbranch_execz .LBB1_364
.LBB1_282:                              ; =>This Loop Header: Depth=1
                                        ;     Child Loop BB1_285 Depth 2
                                        ;     Child Loop BB1_293 Depth 2
                                        ;     Child Loop BB1_301 Depth 2
                                        ;     Child Loop BB1_309 Depth 2
                                        ;     Child Loop BB1_317 Depth 2
                                        ;     Child Loop BB1_325 Depth 2
                                        ;     Child Loop BB1_333 Depth 2
                                        ;     Child Loop BB1_341 Depth 2
                                        ;     Child Loop BB1_349 Depth 2
                                        ;     Child Loop BB1_358 Depth 2
                                        ;     Child Loop BB1_363 Depth 2
	v_cmp_gt_u64_e32 vcc, 56, v[26:27]
	v_cndmask_b32_e32 v33, 0, v27, vcc
	v_cndmask_b32_e32 v32, 56, v26, vcc
	v_cmp_gt_u64_e32 vcc, 8, v[26:27]
                                        ; implicit-def: $vgpr2_vgpr3
                                        ; implicit-def: $sgpr14
	s_and_saveexec_b64 s[4:5], vcc
	s_xor_b64 s[4:5], exec, s[4:5]
	s_cbranch_execz .LBB1_288
; %bb.283:                              ;   in Loop: Header=BB1_282 Depth=1
	s_mov_b64 s[16:17], 0
	v_cmp_ne_u64_e32 vcc, 0, v[26:27]
	s_waitcnt vmcnt(0)
	v_pk_mov_b32 v[2:3], 0, 0
	s_and_saveexec_b64 s[14:15], vcc
	s_cbranch_execz .LBB1_287
; %bb.284:                              ;   in Loop: Header=BB1_282 Depth=1
	v_lshlrev_b64 v[6:7], 3, v[32:33]
	v_pk_mov_b32 v[2:3], 0, 0
	v_pk_mov_b32 v[10:11], v[4:5], v[4:5] op_sel:[0,1]
	s_mov_b64 s[18:19], 0
.LBB1_285:                              ;   Parent Loop BB1_282 Depth=1
                                        ; =>  This Inner Loop Header: Depth=2
	flat_load_ubyte v7, v[10:11]
	v_mov_b32_e32 v13, s22
	v_add_co_u32_e32 v10, vcc, 1, v10
	v_addc_co_u32_e32 v11, vcc, 0, v11, vcc
	s_waitcnt vmcnt(0) lgkmcnt(0)
	v_and_b32_e32 v12, 0xffff, v7
	v_lshlrev_b64 v[12:13], s18, v[12:13]
	s_add_u32 s18, s18, 8
	s_addc_u32 s19, s19, 0
	v_cmp_eq_u32_e32 vcc, s18, v6
	v_or_b32_e32 v3, v13, v3
	s_or_b64 s[16:17], vcc, s[16:17]
	v_or_b32_e32 v2, v12, v2
	s_andn2_b64 exec, exec, s[16:17]
	s_cbranch_execnz .LBB1_285
; %bb.286:                              ;   in Loop: Header=BB1_282 Depth=1
	s_or_b64 exec, exec, s[16:17]
.LBB1_287:                              ;   in Loop: Header=BB1_282 Depth=1
	s_or_b64 exec, exec, s[14:15]
	s_mov_b32 s14, 0
.LBB1_288:                              ;   in Loop: Header=BB1_282 Depth=1
	s_or_saveexec_b64 s[4:5], s[4:5]
	v_mov_b32_e32 v12, s14
	v_pk_mov_b32 v[6:7], v[4:5], v[4:5] op_sel:[0,1]
	s_xor_b64 exec, exec, s[4:5]
	s_cbranch_execz .LBB1_290
; %bb.289:                              ;   in Loop: Header=BB1_282 Depth=1
	s_waitcnt vmcnt(0)
	flat_load_dwordx2 v[2:3], v[4:5]
	v_add_u32_e32 v12, -8, v32
	s_waitcnt vmcnt(0) lgkmcnt(0)
	v_and_b32_e32 v6, 0xff, v3
	v_and_b32_e32 v7, 0xff00, v3
	;; [unrolled: 1-line block ×4, first 2 shown]
	v_or_b32_e32 v6, v6, v7
	v_or3_b32 v3, v6, v10, v3
	v_add_co_u32_e32 v6, vcc, 8, v4
	v_or3_b32 v2, v2, 0, 0
	v_addc_co_u32_e32 v7, vcc, 0, v5, vcc
.LBB1_290:                              ;   in Loop: Header=BB1_282 Depth=1
	s_or_b64 exec, exec, s[4:5]
	v_cmp_gt_u32_e32 vcc, 8, v12
                                        ; implicit-def: $vgpr10_vgpr11
                                        ; implicit-def: $sgpr14
	s_and_saveexec_b64 s[4:5], vcc
	s_xor_b64 s[4:5], exec, s[4:5]
	s_cbranch_execz .LBB1_296
; %bb.291:                              ;   in Loop: Header=BB1_282 Depth=1
	v_cmp_ne_u32_e32 vcc, 0, v12
	v_pk_mov_b32 v[10:11], 0, 0
	s_and_saveexec_b64 s[14:15], vcc
	s_cbranch_execz .LBB1_295
; %bb.292:                              ;   in Loop: Header=BB1_282 Depth=1
	s_mov_b64 s[16:17], 0
	v_pk_mov_b32 v[10:11], 0, 0
	s_mov_b64 s[18:19], 0
	s_mov_b64 s[20:21], 0
.LBB1_293:                              ;   Parent Loop BB1_282 Depth=1
                                        ; =>  This Inner Loop Header: Depth=2
	v_mov_b32_e32 v13, s21
	v_add_co_u32_e32 v14, vcc, s20, v6
	v_addc_co_u32_e32 v15, vcc, v7, v13, vcc
	flat_load_ubyte v13, v[14:15]
	s_add_u32 s20, s20, 1
	v_mov_b32_e32 v15, s22
	s_addc_u32 s21, s21, 0
	v_cmp_eq_u32_e32 vcc, s20, v12
	s_waitcnt vmcnt(0) lgkmcnt(0)
	v_and_b32_e32 v14, 0xffff, v13
	v_lshlrev_b64 v[14:15], s18, v[14:15]
	s_add_u32 s18, s18, 8
	s_addc_u32 s19, s19, 0
	v_or_b32_e32 v11, v15, v11
	s_or_b64 s[16:17], vcc, s[16:17]
	v_or_b32_e32 v10, v14, v10
	s_andn2_b64 exec, exec, s[16:17]
	s_cbranch_execnz .LBB1_293
; %bb.294:                              ;   in Loop: Header=BB1_282 Depth=1
	s_or_b64 exec, exec, s[16:17]
.LBB1_295:                              ;   in Loop: Header=BB1_282 Depth=1
	s_or_b64 exec, exec, s[14:15]
	s_mov_b32 s14, 0
                                        ; implicit-def: $vgpr12
.LBB1_296:                              ;   in Loop: Header=BB1_282 Depth=1
	s_or_saveexec_b64 s[4:5], s[4:5]
	v_mov_b32_e32 v14, s14
	s_xor_b64 exec, exec, s[4:5]
	s_cbranch_execz .LBB1_298
; %bb.297:                              ;   in Loop: Header=BB1_282 Depth=1
	flat_load_dwordx2 v[10:11], v[6:7]
	v_add_u32_e32 v14, -8, v12
	v_add_co_u32_e32 v6, vcc, 8, v6
	v_addc_co_u32_e32 v7, vcc, 0, v7, vcc
	s_waitcnt vmcnt(0) lgkmcnt(0)
	v_and_b32_e32 v12, 0xff, v11
	v_and_b32_e32 v13, 0xff00, v11
	;; [unrolled: 1-line block ×4, first 2 shown]
	v_or_b32_e32 v12, v12, v13
	v_or3_b32 v10, v10, 0, 0
	v_or3_b32 v11, v12, v15, v11
.LBB1_298:                              ;   in Loop: Header=BB1_282 Depth=1
	s_or_b64 exec, exec, s[4:5]
	v_cmp_gt_u32_e32 vcc, 8, v14
                                        ; implicit-def: $sgpr14
	s_and_saveexec_b64 s[4:5], vcc
	s_xor_b64 s[4:5], exec, s[4:5]
	s_cbranch_execz .LBB1_304
; %bb.299:                              ;   in Loop: Header=BB1_282 Depth=1
	v_cmp_ne_u32_e32 vcc, 0, v14
	v_pk_mov_b32 v[12:13], 0, 0
	s_and_saveexec_b64 s[14:15], vcc
	s_cbranch_execz .LBB1_303
; %bb.300:                              ;   in Loop: Header=BB1_282 Depth=1
	s_mov_b64 s[16:17], 0
	v_pk_mov_b32 v[12:13], 0, 0
	s_mov_b64 s[18:19], 0
	s_mov_b64 s[20:21], 0
.LBB1_301:                              ;   Parent Loop BB1_282 Depth=1
                                        ; =>  This Inner Loop Header: Depth=2
	v_mov_b32_e32 v15, s21
	v_add_co_u32_e32 v16, vcc, s20, v6
	v_addc_co_u32_e32 v17, vcc, v7, v15, vcc
	flat_load_ubyte v15, v[16:17]
	s_add_u32 s20, s20, 1
	v_mov_b32_e32 v17, s22
	s_addc_u32 s21, s21, 0
	v_cmp_eq_u32_e32 vcc, s20, v14
	s_waitcnt vmcnt(0) lgkmcnt(0)
	v_and_b32_e32 v16, 0xffff, v15
	v_lshlrev_b64 v[16:17], s18, v[16:17]
	s_add_u32 s18, s18, 8
	s_addc_u32 s19, s19, 0
	v_or_b32_e32 v13, v17, v13
	s_or_b64 s[16:17], vcc, s[16:17]
	v_or_b32_e32 v12, v16, v12
	s_andn2_b64 exec, exec, s[16:17]
	s_cbranch_execnz .LBB1_301
; %bb.302:                              ;   in Loop: Header=BB1_282 Depth=1
	s_or_b64 exec, exec, s[16:17]
.LBB1_303:                              ;   in Loop: Header=BB1_282 Depth=1
	s_or_b64 exec, exec, s[14:15]
	s_mov_b32 s14, 0
                                        ; implicit-def: $vgpr14
.LBB1_304:                              ;   in Loop: Header=BB1_282 Depth=1
	s_or_saveexec_b64 s[4:5], s[4:5]
	v_mov_b32_e32 v16, s14
	s_xor_b64 exec, exec, s[4:5]
	s_cbranch_execz .LBB1_306
; %bb.305:                              ;   in Loop: Header=BB1_282 Depth=1
	flat_load_dwordx2 v[12:13], v[6:7]
	v_add_u32_e32 v16, -8, v14
	v_add_co_u32_e32 v6, vcc, 8, v6
	v_addc_co_u32_e32 v7, vcc, 0, v7, vcc
	s_waitcnt vmcnt(0) lgkmcnt(0)
	v_and_b32_e32 v14, 0xff, v13
	v_and_b32_e32 v15, 0xff00, v13
	;; [unrolled: 1-line block ×4, first 2 shown]
	v_or_b32_e32 v14, v14, v15
	v_or3_b32 v12, v12, 0, 0
	v_or3_b32 v13, v14, v17, v13
.LBB1_306:                              ;   in Loop: Header=BB1_282 Depth=1
	s_or_b64 exec, exec, s[4:5]
	v_cmp_gt_u32_e32 vcc, 8, v16
                                        ; implicit-def: $vgpr14_vgpr15
                                        ; implicit-def: $sgpr14
	s_and_saveexec_b64 s[4:5], vcc
	s_xor_b64 s[4:5], exec, s[4:5]
	s_cbranch_execz .LBB1_312
; %bb.307:                              ;   in Loop: Header=BB1_282 Depth=1
	v_cmp_ne_u32_e32 vcc, 0, v16
	v_pk_mov_b32 v[14:15], 0, 0
	s_and_saveexec_b64 s[14:15], vcc
	s_cbranch_execz .LBB1_311
; %bb.308:                              ;   in Loop: Header=BB1_282 Depth=1
	s_mov_b64 s[16:17], 0
	v_pk_mov_b32 v[14:15], 0, 0
	s_mov_b64 s[18:19], 0
	s_mov_b64 s[20:21], 0
.LBB1_309:                              ;   Parent Loop BB1_282 Depth=1
                                        ; =>  This Inner Loop Header: Depth=2
	v_mov_b32_e32 v17, s21
	v_add_co_u32_e32 v18, vcc, s20, v6
	v_addc_co_u32_e32 v19, vcc, v7, v17, vcc
	flat_load_ubyte v17, v[18:19]
	s_add_u32 s20, s20, 1
	v_mov_b32_e32 v19, s22
	s_addc_u32 s21, s21, 0
	v_cmp_eq_u32_e32 vcc, s20, v16
	s_waitcnt vmcnt(0) lgkmcnt(0)
	v_and_b32_e32 v18, 0xffff, v17
	v_lshlrev_b64 v[18:19], s18, v[18:19]
	s_add_u32 s18, s18, 8
	s_addc_u32 s19, s19, 0
	v_or_b32_e32 v15, v19, v15
	s_or_b64 s[16:17], vcc, s[16:17]
	v_or_b32_e32 v14, v18, v14
	s_andn2_b64 exec, exec, s[16:17]
	s_cbranch_execnz .LBB1_309
; %bb.310:                              ;   in Loop: Header=BB1_282 Depth=1
	s_or_b64 exec, exec, s[16:17]
.LBB1_311:                              ;   in Loop: Header=BB1_282 Depth=1
	s_or_b64 exec, exec, s[14:15]
	s_mov_b32 s14, 0
                                        ; implicit-def: $vgpr16
.LBB1_312:                              ;   in Loop: Header=BB1_282 Depth=1
	s_or_saveexec_b64 s[4:5], s[4:5]
	v_mov_b32_e32 v18, s14
	s_xor_b64 exec, exec, s[4:5]
	s_cbranch_execz .LBB1_314
; %bb.313:                              ;   in Loop: Header=BB1_282 Depth=1
	flat_load_dwordx2 v[14:15], v[6:7]
	v_add_u32_e32 v18, -8, v16
	v_add_co_u32_e32 v6, vcc, 8, v6
	v_addc_co_u32_e32 v7, vcc, 0, v7, vcc
	s_waitcnt vmcnt(0) lgkmcnt(0)
	v_and_b32_e32 v16, 0xff, v15
	v_and_b32_e32 v17, 0xff00, v15
	;; [unrolled: 1-line block ×4, first 2 shown]
	v_or_b32_e32 v16, v16, v17
	v_or3_b32 v14, v14, 0, 0
	v_or3_b32 v15, v16, v19, v15
.LBB1_314:                              ;   in Loop: Header=BB1_282 Depth=1
	s_or_b64 exec, exec, s[4:5]
	v_cmp_gt_u32_e32 vcc, 8, v18
                                        ; implicit-def: $sgpr14
	s_and_saveexec_b64 s[4:5], vcc
	s_xor_b64 s[4:5], exec, s[4:5]
	s_cbranch_execz .LBB1_320
; %bb.315:                              ;   in Loop: Header=BB1_282 Depth=1
	v_cmp_ne_u32_e32 vcc, 0, v18
	v_pk_mov_b32 v[16:17], 0, 0
	s_and_saveexec_b64 s[14:15], vcc
	s_cbranch_execz .LBB1_319
; %bb.316:                              ;   in Loop: Header=BB1_282 Depth=1
	s_mov_b64 s[16:17], 0
	v_pk_mov_b32 v[16:17], 0, 0
	s_mov_b64 s[18:19], 0
	s_mov_b64 s[20:21], 0
.LBB1_317:                              ;   Parent Loop BB1_282 Depth=1
                                        ; =>  This Inner Loop Header: Depth=2
	v_mov_b32_e32 v19, s21
	v_add_co_u32_e32 v20, vcc, s20, v6
	v_addc_co_u32_e32 v21, vcc, v7, v19, vcc
	flat_load_ubyte v19, v[20:21]
	s_add_u32 s20, s20, 1
	v_mov_b32_e32 v21, s22
	s_addc_u32 s21, s21, 0
	v_cmp_eq_u32_e32 vcc, s20, v18
	s_waitcnt vmcnt(0) lgkmcnt(0)
	v_and_b32_e32 v20, 0xffff, v19
	v_lshlrev_b64 v[20:21], s18, v[20:21]
	s_add_u32 s18, s18, 8
	s_addc_u32 s19, s19, 0
	v_or_b32_e32 v17, v21, v17
	s_or_b64 s[16:17], vcc, s[16:17]
	v_or_b32_e32 v16, v20, v16
	s_andn2_b64 exec, exec, s[16:17]
	s_cbranch_execnz .LBB1_317
; %bb.318:                              ;   in Loop: Header=BB1_282 Depth=1
	s_or_b64 exec, exec, s[16:17]
.LBB1_319:                              ;   in Loop: Header=BB1_282 Depth=1
	s_or_b64 exec, exec, s[14:15]
	s_mov_b32 s14, 0
                                        ; implicit-def: $vgpr18
.LBB1_320:                              ;   in Loop: Header=BB1_282 Depth=1
	s_or_saveexec_b64 s[4:5], s[4:5]
	v_mov_b32_e32 v20, s14
	s_xor_b64 exec, exec, s[4:5]
	s_cbranch_execz .LBB1_322
; %bb.321:                              ;   in Loop: Header=BB1_282 Depth=1
	flat_load_dwordx2 v[16:17], v[6:7]
	v_add_u32_e32 v20, -8, v18
	v_add_co_u32_e32 v6, vcc, 8, v6
	v_addc_co_u32_e32 v7, vcc, 0, v7, vcc
	s_waitcnt vmcnt(0) lgkmcnt(0)
	v_and_b32_e32 v18, 0xff, v17
	v_and_b32_e32 v19, 0xff00, v17
	;; [unrolled: 1-line block ×4, first 2 shown]
	v_or_b32_e32 v18, v18, v19
	v_or3_b32 v16, v16, 0, 0
	v_or3_b32 v17, v18, v21, v17
.LBB1_322:                              ;   in Loop: Header=BB1_282 Depth=1
	s_or_b64 exec, exec, s[4:5]
	v_cmp_gt_u32_e32 vcc, 8, v20
                                        ; implicit-def: $vgpr18_vgpr19
                                        ; implicit-def: $sgpr14
	s_and_saveexec_b64 s[4:5], vcc
	s_xor_b64 s[4:5], exec, s[4:5]
	s_cbranch_execz .LBB1_328
; %bb.323:                              ;   in Loop: Header=BB1_282 Depth=1
	v_cmp_ne_u32_e32 vcc, 0, v20
	v_pk_mov_b32 v[18:19], 0, 0
	s_and_saveexec_b64 s[14:15], vcc
	s_cbranch_execz .LBB1_327
; %bb.324:                              ;   in Loop: Header=BB1_282 Depth=1
	s_mov_b64 s[16:17], 0
	v_pk_mov_b32 v[18:19], 0, 0
	s_mov_b64 s[18:19], 0
	s_mov_b64 s[20:21], 0
.LBB1_325:                              ;   Parent Loop BB1_282 Depth=1
                                        ; =>  This Inner Loop Header: Depth=2
	v_mov_b32_e32 v21, s21
	v_add_co_u32_e32 v22, vcc, s20, v6
	v_addc_co_u32_e32 v23, vcc, v7, v21, vcc
	flat_load_ubyte v21, v[22:23]
	s_add_u32 s20, s20, 1
	v_mov_b32_e32 v23, s22
	s_addc_u32 s21, s21, 0
	v_cmp_eq_u32_e32 vcc, s20, v20
	s_waitcnt vmcnt(0) lgkmcnt(0)
	v_and_b32_e32 v22, 0xffff, v21
	v_lshlrev_b64 v[22:23], s18, v[22:23]
	s_add_u32 s18, s18, 8
	s_addc_u32 s19, s19, 0
	v_or_b32_e32 v19, v23, v19
	s_or_b64 s[16:17], vcc, s[16:17]
	v_or_b32_e32 v18, v22, v18
	s_andn2_b64 exec, exec, s[16:17]
	s_cbranch_execnz .LBB1_325
; %bb.326:                              ;   in Loop: Header=BB1_282 Depth=1
	s_or_b64 exec, exec, s[16:17]
.LBB1_327:                              ;   in Loop: Header=BB1_282 Depth=1
	s_or_b64 exec, exec, s[14:15]
	s_mov_b32 s14, 0
                                        ; implicit-def: $vgpr20
.LBB1_328:                              ;   in Loop: Header=BB1_282 Depth=1
	s_or_saveexec_b64 s[4:5], s[4:5]
	v_mov_b32_e32 v22, s14
	s_xor_b64 exec, exec, s[4:5]
	s_cbranch_execz .LBB1_330
; %bb.329:                              ;   in Loop: Header=BB1_282 Depth=1
	flat_load_dwordx2 v[18:19], v[6:7]
	v_add_u32_e32 v22, -8, v20
	v_add_co_u32_e32 v6, vcc, 8, v6
	v_addc_co_u32_e32 v7, vcc, 0, v7, vcc
	s_waitcnt vmcnt(0) lgkmcnt(0)
	v_and_b32_e32 v20, 0xff, v19
	v_and_b32_e32 v21, 0xff00, v19
	;; [unrolled: 1-line block ×4, first 2 shown]
	v_or_b32_e32 v20, v20, v21
	v_or3_b32 v18, v18, 0, 0
	v_or3_b32 v19, v20, v23, v19
.LBB1_330:                              ;   in Loop: Header=BB1_282 Depth=1
	s_or_b64 exec, exec, s[4:5]
	v_cmp_gt_u32_e32 vcc, 8, v22
	s_and_saveexec_b64 s[4:5], vcc
	s_xor_b64 s[4:5], exec, s[4:5]
	s_cbranch_execz .LBB1_336
; %bb.331:                              ;   in Loop: Header=BB1_282 Depth=1
	v_cmp_ne_u32_e32 vcc, 0, v22
	v_pk_mov_b32 v[20:21], 0, 0
	s_and_saveexec_b64 s[14:15], vcc
	s_cbranch_execz .LBB1_335
; %bb.332:                              ;   in Loop: Header=BB1_282 Depth=1
	s_mov_b64 s[16:17], 0
	v_pk_mov_b32 v[20:21], 0, 0
	s_mov_b64 s[18:19], 0
.LBB1_333:                              ;   Parent Loop BB1_282 Depth=1
                                        ; =>  This Inner Loop Header: Depth=2
	flat_load_ubyte v23, v[6:7]
	v_mov_b32_e32 v25, s22
	v_add_co_u32_e32 v6, vcc, 1, v6
	v_add_u32_e32 v22, -1, v22
	v_addc_co_u32_e32 v7, vcc, 0, v7, vcc
	v_cmp_eq_u32_e32 vcc, 0, v22
	s_waitcnt vmcnt(0) lgkmcnt(0)
	v_and_b32_e32 v24, 0xffff, v23
	v_lshlrev_b64 v[24:25], s18, v[24:25]
	s_add_u32 s18, s18, 8
	s_addc_u32 s19, s19, 0
	v_or_b32_e32 v21, v25, v21
	s_or_b64 s[16:17], vcc, s[16:17]
	v_or_b32_e32 v20, v24, v20
	s_andn2_b64 exec, exec, s[16:17]
	s_cbranch_execnz .LBB1_333
; %bb.334:                              ;   in Loop: Header=BB1_282 Depth=1
	s_or_b64 exec, exec, s[16:17]
.LBB1_335:                              ;   in Loop: Header=BB1_282 Depth=1
	s_or_b64 exec, exec, s[14:15]
                                        ; implicit-def: $vgpr6_vgpr7
.LBB1_336:                              ;   in Loop: Header=BB1_282 Depth=1
	s_andn2_saveexec_b64 s[4:5], s[4:5]
	s_cbranch_execz .LBB1_338
; %bb.337:                              ;   in Loop: Header=BB1_282 Depth=1
	flat_load_dwordx2 v[6:7], v[6:7]
	s_waitcnt vmcnt(0) lgkmcnt(0)
	v_and_b32_e32 v20, 0xff, v7
	v_and_b32_e32 v21, 0xff00, v7
	;; [unrolled: 1-line block ×4, first 2 shown]
	v_or_b32_e32 v20, v20, v21
	v_or3_b32 v21, v20, v22, v7
	v_or3_b32 v20, v6, 0, 0
.LBB1_338:                              ;   in Loop: Header=BB1_282 Depth=1
	s_or_b64 exec, exec, s[4:5]
	v_readfirstlane_b32 s4, v37
	v_cmp_eq_u32_e64 s[4:5], s4, v37
	v_pk_mov_b32 v[6:7], 0, 0
	s_and_saveexec_b64 s[14:15], s[4:5]
	s_cbranch_execz .LBB1_344
; %bb.339:                              ;   in Loop: Header=BB1_282 Depth=1
	global_load_dwordx2 v[24:25], v31, s[10:11] offset:24 glc
	s_waitcnt vmcnt(0)
	buffer_invl2
	buffer_wbinvl1_vol
	global_load_dwordx2 v[6:7], v31, s[10:11] offset:40
	global_load_dwordx2 v[22:23], v31, s[10:11]
	s_waitcnt vmcnt(1)
	v_and_b32_e32 v6, v6, v24
	v_and_b32_e32 v7, v7, v25
	v_mul_lo_u32 v7, v7, 24
	v_mul_hi_u32 v29, v6, 24
	v_mul_lo_u32 v6, v6, 24
	v_add_u32_e32 v7, v29, v7
	s_waitcnt vmcnt(0)
	v_add_co_u32_e32 v6, vcc, v22, v6
	v_addc_co_u32_e32 v7, vcc, v23, v7, vcc
	global_load_dwordx2 v[22:23], v[6:7], off glc
	s_waitcnt vmcnt(0)
	global_atomic_cmpswap_x2 v[6:7], v31, v[22:25], s[10:11] offset:24 glc
	s_waitcnt vmcnt(0)
	buffer_invl2
	buffer_wbinvl1_vol
	v_cmp_ne_u64_e32 vcc, v[6:7], v[24:25]
	s_and_saveexec_b64 s[16:17], vcc
	s_cbranch_execz .LBB1_343
; %bb.340:                              ;   in Loop: Header=BB1_282 Depth=1
	s_mov_b64 s[18:19], 0
.LBB1_341:                              ;   Parent Loop BB1_282 Depth=1
                                        ; =>  This Inner Loop Header: Depth=2
	s_sleep 1
	global_load_dwordx2 v[22:23], v31, s[10:11] offset:40
	global_load_dwordx2 v[34:35], v31, s[10:11]
	v_pk_mov_b32 v[24:25], v[6:7], v[6:7] op_sel:[0,1]
	s_waitcnt vmcnt(1)
	v_and_b32_e32 v6, v22, v24
	s_waitcnt vmcnt(0)
	v_mad_u64_u32 v[6:7], s[20:21], v6, 24, v[34:35]
	v_and_b32_e32 v23, v23, v25
	v_mov_b32_e32 v22, v7
	v_mad_u64_u32 v[22:23], s[20:21], v23, 24, v[22:23]
	v_mov_b32_e32 v7, v22
	global_load_dwordx2 v[22:23], v[6:7], off glc
	s_waitcnt vmcnt(0)
	global_atomic_cmpswap_x2 v[6:7], v31, v[22:25], s[10:11] offset:24 glc
	s_waitcnt vmcnt(0)
	buffer_invl2
	buffer_wbinvl1_vol
	v_cmp_eq_u64_e32 vcc, v[6:7], v[24:25]
	s_or_b64 s[18:19], vcc, s[18:19]
	s_andn2_b64 exec, exec, s[18:19]
	s_cbranch_execnz .LBB1_341
; %bb.342:                              ;   in Loop: Header=BB1_282 Depth=1
	s_or_b64 exec, exec, s[18:19]
.LBB1_343:                              ;   in Loop: Header=BB1_282 Depth=1
	s_or_b64 exec, exec, s[16:17]
.LBB1_344:                              ;   in Loop: Header=BB1_282 Depth=1
	s_or_b64 exec, exec, s[14:15]
	global_load_dwordx2 v[34:35], v31, s[10:11] offset:40
	global_load_dwordx4 v[22:25], v31, s[10:11]
	v_readfirstlane_b32 s14, v6
	v_readfirstlane_b32 s15, v7
	s_mov_b64 s[16:17], exec
	s_waitcnt vmcnt(1)
	v_readfirstlane_b32 s18, v34
	v_readfirstlane_b32 s19, v35
	s_and_b64 s[18:19], s[14:15], s[18:19]
	s_mul_i32 s20, s19, 24
	s_mul_hi_u32 s21, s18, 24
	s_mul_i32 s24, s18, 24
	s_add_i32 s20, s21, s20
	v_mov_b32_e32 v6, s20
	s_waitcnt vmcnt(0)
	v_add_co_u32_e32 v34, vcc, s24, v22
	v_addc_co_u32_e32 v35, vcc, v23, v6, vcc
	s_and_saveexec_b64 s[20:21], s[4:5]
	s_cbranch_execz .LBB1_346
; %bb.345:                              ;   in Loop: Header=BB1_282 Depth=1
	v_pk_mov_b32 v[6:7], s[16:17], s[16:17] op_sel:[0,1]
	global_store_dwordx4 v[34:35], v[6:9], off offset:8
.LBB1_346:                              ;   in Loop: Header=BB1_282 Depth=1
	s_or_b64 exec, exec, s[20:21]
	s_lshl_b64 s[16:17], s[18:19], 12
	v_mov_b32_e32 v7, s17
	v_add_co_u32_e32 v6, vcc, s16, v24
	v_addc_co_u32_e32 v7, vcc, v25, v7, vcc
	v_or_b32_e32 v24, 0, v1
	v_cmp_lt_u64_e32 vcc, 56, v[26:27]
	v_or_b32_e32 v25, v0, v28
	v_cndmask_b32_e32 v1, v24, v1, vcc
	v_lshl_add_u32 v24, v32, 2, 28
	v_cndmask_b32_e32 v0, v25, v0, vcc
	v_and_b32_e32 v24, 0x1e0, v24
	v_and_or_b32 v0, v0, s23, v24
	v_readfirstlane_b32 s16, v6
	v_readfirstlane_b32 s17, v7
	s_nop 4
	global_store_dwordx4 v36, v[0:3], s[16:17]
	global_store_dwordx4 v36, v[10:13], s[16:17] offset:16
	global_store_dwordx4 v36, v[14:17], s[16:17] offset:32
	;; [unrolled: 1-line block ×3, first 2 shown]
	s_and_saveexec_b64 s[16:17], s[4:5]
	s_cbranch_execz .LBB1_354
; %bb.347:                              ;   in Loop: Header=BB1_282 Depth=1
	global_load_dwordx2 v[14:15], v31, s[10:11] offset:32 glc
	global_load_dwordx2 v[0:1], v31, s[10:11] offset:40
	v_mov_b32_e32 v12, s14
	v_mov_b32_e32 v13, s15
	s_waitcnt vmcnt(0)
	v_readfirstlane_b32 s18, v0
	v_readfirstlane_b32 s19, v1
	s_and_b64 s[18:19], s[18:19], s[14:15]
	s_mul_i32 s19, s19, 24
	s_mul_hi_u32 s20, s18, 24
	s_mul_i32 s18, s18, 24
	s_add_i32 s19, s20, s19
	v_mov_b32_e32 v0, s19
	v_add_co_u32_e32 v10, vcc, s18, v22
	v_addc_co_u32_e32 v11, vcc, v23, v0, vcc
	global_store_dwordx2 v[10:11], v[14:15], off
	buffer_wbl2
	s_waitcnt vmcnt(0)
	global_atomic_cmpswap_x2 v[2:3], v31, v[12:15], s[10:11] offset:32 glc
	s_waitcnt vmcnt(0)
	v_cmp_ne_u64_e32 vcc, v[2:3], v[14:15]
	s_and_saveexec_b64 s[18:19], vcc
	s_cbranch_execz .LBB1_350
; %bb.348:                              ;   in Loop: Header=BB1_282 Depth=1
	s_mov_b64 s[20:21], 0
.LBB1_349:                              ;   Parent Loop BB1_282 Depth=1
                                        ; =>  This Inner Loop Header: Depth=2
	s_sleep 1
	global_store_dwordx2 v[10:11], v[2:3], off
	v_mov_b32_e32 v0, s14
	v_mov_b32_e32 v1, s15
	buffer_wbl2
	s_waitcnt vmcnt(0)
	global_atomic_cmpswap_x2 v[0:1], v31, v[0:3], s[10:11] offset:32 glc
	s_waitcnt vmcnt(0)
	v_cmp_eq_u64_e32 vcc, v[0:1], v[2:3]
	s_or_b64 s[20:21], vcc, s[20:21]
	v_pk_mov_b32 v[2:3], v[0:1], v[0:1] op_sel:[0,1]
	s_andn2_b64 exec, exec, s[20:21]
	s_cbranch_execnz .LBB1_349
.LBB1_350:                              ;   in Loop: Header=BB1_282 Depth=1
	s_or_b64 exec, exec, s[18:19]
	global_load_dwordx2 v[0:1], v31, s[10:11] offset:16
	s_mov_b64 s[20:21], exec
	v_mbcnt_lo_u32_b32 v2, s20, 0
	v_mbcnt_hi_u32_b32 v2, s21, v2
	v_cmp_eq_u32_e32 vcc, 0, v2
	s_and_saveexec_b64 s[18:19], vcc
	s_cbranch_execz .LBB1_352
; %bb.351:                              ;   in Loop: Header=BB1_282 Depth=1
	s_bcnt1_i32_b64 s20, s[20:21]
	v_mov_b32_e32 v30, s20
	buffer_wbl2
	s_waitcnt vmcnt(0)
	global_atomic_add_x2 v[0:1], v[30:31], off offset:8
.LBB1_352:                              ;   in Loop: Header=BB1_282 Depth=1
	s_or_b64 exec, exec, s[18:19]
	s_waitcnt vmcnt(0)
	global_load_dwordx2 v[2:3], v[0:1], off offset:16
	s_waitcnt vmcnt(0)
	v_cmp_eq_u64_e32 vcc, 0, v[2:3]
	s_cbranch_vccnz .LBB1_354
; %bb.353:                              ;   in Loop: Header=BB1_282 Depth=1
	global_load_dword v30, v[0:1], off offset:24
	s_waitcnt vmcnt(0)
	v_and_b32_e32 v0, 0xffffff, v30
	v_readfirstlane_b32 m0, v0
	buffer_wbl2
	global_store_dwordx2 v[2:3], v[30:31], off
	s_sendmsg sendmsg(MSG_INTERRUPT)
.LBB1_354:                              ;   in Loop: Header=BB1_282 Depth=1
	s_or_b64 exec, exec, s[16:17]
	v_add_co_u32_e32 v0, vcc, v6, v36
	v_addc_co_u32_e32 v1, vcc, 0, v7, vcc
	s_branch .LBB1_358
.LBB1_355:                              ;   in Loop: Header=BB1_358 Depth=2
	s_or_b64 exec, exec, s[16:17]
	v_readfirstlane_b32 s16, v2
	s_cmp_eq_u32 s16, 0
	s_cbranch_scc1 .LBB1_357
; %bb.356:                              ;   in Loop: Header=BB1_358 Depth=2
	s_sleep 1
	s_cbranch_execnz .LBB1_358
	s_branch .LBB1_360
.LBB1_357:                              ;   in Loop: Header=BB1_282 Depth=1
	s_branch .LBB1_360
.LBB1_358:                              ;   Parent Loop BB1_282 Depth=1
                                        ; =>  This Inner Loop Header: Depth=2
	v_mov_b32_e32 v2, 1
	s_and_saveexec_b64 s[16:17], s[4:5]
	s_cbranch_execz .LBB1_355
; %bb.359:                              ;   in Loop: Header=BB1_358 Depth=2
	global_load_dword v2, v[34:35], off offset:20 glc
	s_waitcnt vmcnt(0)
	buffer_invl2
	buffer_wbinvl1_vol
	v_and_b32_e32 v2, 1, v2
	s_branch .LBB1_355
.LBB1_360:                              ;   in Loop: Header=BB1_282 Depth=1
	global_load_dwordx4 v[0:3], v[0:1], off
	s_and_saveexec_b64 s[16:17], s[4:5]
	s_cbranch_execz .LBB1_281
; %bb.361:                              ;   in Loop: Header=BB1_282 Depth=1
	global_load_dwordx2 v[2:3], v31, s[10:11] offset:40
	global_load_dwordx2 v[6:7], v31, s[10:11] offset:24 glc
	global_load_dwordx2 v[14:15], v31, s[10:11]
	v_mov_b32_e32 v11, s15
	s_waitcnt vmcnt(2)
	v_add_co_u32_e32 v13, vcc, 1, v2
	v_addc_co_u32_e32 v16, vcc, 0, v3, vcc
	v_add_co_u32_e32 v10, vcc, s14, v13
	v_addc_co_u32_e32 v11, vcc, v16, v11, vcc
	v_cmp_eq_u64_e32 vcc, 0, v[10:11]
	v_cndmask_b32_e32 v11, v11, v16, vcc
	v_cndmask_b32_e32 v10, v10, v13, vcc
	v_and_b32_e32 v3, v11, v3
	v_and_b32_e32 v2, v10, v2
	v_mul_lo_u32 v3, v3, 24
	v_mul_hi_u32 v13, v2, 24
	v_mul_lo_u32 v2, v2, 24
	v_add_u32_e32 v3, v13, v3
	s_waitcnt vmcnt(0)
	v_add_co_u32_e32 v2, vcc, v14, v2
	v_addc_co_u32_e32 v3, vcc, v15, v3, vcc
	v_mov_b32_e32 v12, v6
	global_store_dwordx2 v[2:3], v[6:7], off
	v_mov_b32_e32 v13, v7
	buffer_wbl2
	s_waitcnt vmcnt(0)
	global_atomic_cmpswap_x2 v[12:13], v31, v[10:13], s[10:11] offset:24 glc
	s_waitcnt vmcnt(0)
	v_cmp_ne_u64_e32 vcc, v[12:13], v[6:7]
	s_and_b64 exec, exec, vcc
	s_cbranch_execz .LBB1_281
; %bb.362:                              ;   in Loop: Header=BB1_282 Depth=1
	s_mov_b64 s[4:5], 0
.LBB1_363:                              ;   Parent Loop BB1_282 Depth=1
                                        ; =>  This Inner Loop Header: Depth=2
	s_sleep 1
	global_store_dwordx2 v[2:3], v[12:13], off
	buffer_wbl2
	s_waitcnt vmcnt(0)
	global_atomic_cmpswap_x2 v[6:7], v31, v[10:13], s[10:11] offset:24 glc
	s_waitcnt vmcnt(0)
	v_cmp_eq_u64_e32 vcc, v[6:7], v[12:13]
	s_or_b64 s[4:5], vcc, s[4:5]
	v_pk_mov_b32 v[12:13], v[6:7], v[6:7] op_sel:[0,1]
	s_andn2_b64 exec, exec, s[4:5]
	s_cbranch_execnz .LBB1_363
	s_branch .LBB1_281
.LBB1_364:
	s_or_b64 exec, exec, s[6:7]
                                        ; implicit-def: $vgpr36
                                        ; implicit-def: $vgpr37
.LBB1_365:
	s_andn2_saveexec_b64 s[6:7], s[12:13]
	s_cbranch_execz .LBB1_392
; %bb.366:
	v_readfirstlane_b32 s4, v37
	v_cmp_eq_u32_e64 s[4:5], s4, v37
	v_pk_mov_b32 v[8:9], 0, 0
	s_and_saveexec_b64 s[12:13], s[4:5]
	s_cbranch_execz .LBB1_372
; %bb.367:
	s_waitcnt vmcnt(0)
	v_mov_b32_e32 v2, 0
	global_load_dwordx2 v[6:7], v2, s[10:11] offset:24 glc
	s_waitcnt vmcnt(0)
	buffer_invl2
	buffer_wbinvl1_vol
	global_load_dwordx2 v[4:5], v2, s[10:11] offset:40
	global_load_dwordx2 v[8:9], v2, s[10:11]
	s_waitcnt vmcnt(1)
	v_and_b32_e32 v3, v4, v6
	v_and_b32_e32 v4, v5, v7
	v_mul_lo_u32 v4, v4, 24
	v_mul_hi_u32 v5, v3, 24
	v_mul_lo_u32 v3, v3, 24
	v_add_u32_e32 v5, v5, v4
	s_waitcnt vmcnt(0)
	v_add_co_u32_e32 v4, vcc, v8, v3
	v_addc_co_u32_e32 v5, vcc, v9, v5, vcc
	global_load_dwordx2 v[4:5], v[4:5], off glc
	s_waitcnt vmcnt(0)
	global_atomic_cmpswap_x2 v[8:9], v2, v[4:7], s[10:11] offset:24 glc
	s_waitcnt vmcnt(0)
	buffer_invl2
	buffer_wbinvl1_vol
	v_cmp_ne_u64_e32 vcc, v[8:9], v[6:7]
	s_and_saveexec_b64 s[14:15], vcc
	s_cbranch_execz .LBB1_371
; %bb.368:
	s_mov_b64 s[16:17], 0
.LBB1_369:                              ; =>This Inner Loop Header: Depth=1
	s_sleep 1
	global_load_dwordx2 v[4:5], v2, s[10:11] offset:40
	global_load_dwordx2 v[10:11], v2, s[10:11]
	v_pk_mov_b32 v[6:7], v[8:9], v[8:9] op_sel:[0,1]
	s_waitcnt vmcnt(1)
	v_and_b32_e32 v4, v4, v6
	v_and_b32_e32 v3, v5, v7
	s_waitcnt vmcnt(0)
	v_mad_u64_u32 v[4:5], s[18:19], v4, 24, v[10:11]
	v_mov_b32_e32 v8, v5
	v_mad_u64_u32 v[8:9], s[18:19], v3, 24, v[8:9]
	v_mov_b32_e32 v5, v8
	global_load_dwordx2 v[4:5], v[4:5], off glc
	s_waitcnt vmcnt(0)
	global_atomic_cmpswap_x2 v[8:9], v2, v[4:7], s[10:11] offset:24 glc
	s_waitcnt vmcnt(0)
	buffer_invl2
	buffer_wbinvl1_vol
	v_cmp_eq_u64_e32 vcc, v[8:9], v[6:7]
	s_or_b64 s[16:17], vcc, s[16:17]
	s_andn2_b64 exec, exec, s[16:17]
	s_cbranch_execnz .LBB1_369
; %bb.370:
	s_or_b64 exec, exec, s[16:17]
.LBB1_371:
	s_or_b64 exec, exec, s[14:15]
.LBB1_372:
	s_or_b64 exec, exec, s[12:13]
	s_waitcnt vmcnt(0)
	v_mov_b32_e32 v2, 0
	global_load_dwordx2 v[10:11], v2, s[10:11] offset:40
	global_load_dwordx4 v[4:7], v2, s[10:11]
	v_readfirstlane_b32 s12, v8
	v_readfirstlane_b32 s13, v9
	s_mov_b64 s[14:15], exec
	s_waitcnt vmcnt(1)
	v_readfirstlane_b32 s16, v10
	v_readfirstlane_b32 s17, v11
	s_and_b64 s[16:17], s[12:13], s[16:17]
	s_mul_i32 s18, s17, 24
	s_mul_hi_u32 s19, s16, 24
	s_mul_i32 s20, s16, 24
	s_add_i32 s18, s19, s18
	v_mov_b32_e32 v3, s18
	s_waitcnt vmcnt(0)
	v_add_co_u32_e32 v8, vcc, s20, v4
	v_addc_co_u32_e32 v9, vcc, v5, v3, vcc
	s_and_saveexec_b64 s[18:19], s[4:5]
	s_cbranch_execz .LBB1_374
; %bb.373:
	v_pk_mov_b32 v[10:11], s[14:15], s[14:15] op_sel:[0,1]
	v_mov_b32_e32 v12, 2
	v_mov_b32_e32 v13, 1
	global_store_dwordx4 v[8:9], v[10:13], off offset:8
.LBB1_374:
	s_or_b64 exec, exec, s[18:19]
	s_lshl_b64 s[14:15], s[16:17], 12
	v_mov_b32_e32 v3, s15
	v_add_co_u32_e32 v10, vcc, s14, v6
	v_addc_co_u32_e32 v11, vcc, v7, v3, vcc
	s_movk_i32 s14, 0xff1f
	s_mov_b32 s16, 0
	v_and_or_b32 v0, v0, s14, 32
	v_mov_b32_e32 v3, v2
	v_readfirstlane_b32 s14, v10
	v_readfirstlane_b32 s15, v11
	s_mov_b32 s17, s16
	v_add_co_u32_e32 v6, vcc, v10, v36
	s_mov_b32 s18, s16
	s_mov_b32 s19, s16
	s_nop 0
	global_store_dwordx4 v36, v[0:3], s[14:15]
	v_addc_co_u32_e32 v7, vcc, 0, v11, vcc
	v_pk_mov_b32 v[0:1], s[16:17], s[16:17] op_sel:[0,1]
	v_pk_mov_b32 v[2:3], s[18:19], s[18:19] op_sel:[0,1]
	global_store_dwordx4 v36, v[0:3], s[14:15] offset:16
	global_store_dwordx4 v36, v[0:3], s[14:15] offset:32
	;; [unrolled: 1-line block ×3, first 2 shown]
	s_and_saveexec_b64 s[14:15], s[4:5]
	s_cbranch_execz .LBB1_382
; %bb.375:
	v_mov_b32_e32 v10, 0
	global_load_dwordx2 v[14:15], v10, s[10:11] offset:32 glc
	global_load_dwordx2 v[0:1], v10, s[10:11] offset:40
	v_mov_b32_e32 v12, s12
	v_mov_b32_e32 v13, s13
	s_waitcnt vmcnt(0)
	v_readfirstlane_b32 s16, v0
	v_readfirstlane_b32 s17, v1
	s_and_b64 s[16:17], s[16:17], s[12:13]
	s_mul_i32 s17, s17, 24
	s_mul_hi_u32 s18, s16, 24
	s_mul_i32 s16, s16, 24
	s_add_i32 s17, s18, s17
	v_mov_b32_e32 v0, s17
	v_add_co_u32_e32 v4, vcc, s16, v4
	v_addc_co_u32_e32 v5, vcc, v5, v0, vcc
	global_store_dwordx2 v[4:5], v[14:15], off
	buffer_wbl2
	s_waitcnt vmcnt(0)
	global_atomic_cmpswap_x2 v[2:3], v10, v[12:15], s[10:11] offset:32 glc
	s_waitcnt vmcnt(0)
	v_cmp_ne_u64_e32 vcc, v[2:3], v[14:15]
	s_and_saveexec_b64 s[16:17], vcc
	s_cbranch_execz .LBB1_378
; %bb.376:
	s_mov_b64 s[18:19], 0
.LBB1_377:                              ; =>This Inner Loop Header: Depth=1
	s_sleep 1
	global_store_dwordx2 v[4:5], v[2:3], off
	v_mov_b32_e32 v0, s12
	v_mov_b32_e32 v1, s13
	buffer_wbl2
	s_waitcnt vmcnt(0)
	global_atomic_cmpswap_x2 v[0:1], v10, v[0:3], s[10:11] offset:32 glc
	s_waitcnt vmcnt(0)
	v_cmp_eq_u64_e32 vcc, v[0:1], v[2:3]
	s_or_b64 s[18:19], vcc, s[18:19]
	v_pk_mov_b32 v[2:3], v[0:1], v[0:1] op_sel:[0,1]
	s_andn2_b64 exec, exec, s[18:19]
	s_cbranch_execnz .LBB1_377
.LBB1_378:
	s_or_b64 exec, exec, s[16:17]
	v_mov_b32_e32 v3, 0
	global_load_dwordx2 v[0:1], v3, s[10:11] offset:16
	s_mov_b64 s[16:17], exec
	v_mbcnt_lo_u32_b32 v2, s16, 0
	v_mbcnt_hi_u32_b32 v2, s17, v2
	v_cmp_eq_u32_e32 vcc, 0, v2
	s_and_saveexec_b64 s[18:19], vcc
	s_cbranch_execz .LBB1_380
; %bb.379:
	s_bcnt1_i32_b64 s16, s[16:17]
	v_mov_b32_e32 v2, s16
	buffer_wbl2
	s_waitcnt vmcnt(0)
	global_atomic_add_x2 v[0:1], v[2:3], off offset:8
.LBB1_380:
	s_or_b64 exec, exec, s[18:19]
	s_waitcnt vmcnt(0)
	global_load_dwordx2 v[2:3], v[0:1], off offset:16
	s_waitcnt vmcnt(0)
	v_cmp_eq_u64_e32 vcc, 0, v[2:3]
	s_cbranch_vccnz .LBB1_382
; %bb.381:
	global_load_dword v0, v[0:1], off offset:24
	v_mov_b32_e32 v1, 0
	buffer_wbl2
	s_waitcnt vmcnt(0)
	global_store_dwordx2 v[2:3], v[0:1], off
	v_and_b32_e32 v0, 0xffffff, v0
	v_readfirstlane_b32 m0, v0
	s_sendmsg sendmsg(MSG_INTERRUPT)
.LBB1_382:
	s_or_b64 exec, exec, s[14:15]
	s_branch .LBB1_386
.LBB1_383:                              ;   in Loop: Header=BB1_386 Depth=1
	s_or_b64 exec, exec, s[14:15]
	v_readfirstlane_b32 s14, v0
	s_cmp_eq_u32 s14, 0
	s_cbranch_scc1 .LBB1_385
; %bb.384:                              ;   in Loop: Header=BB1_386 Depth=1
	s_sleep 1
	s_cbranch_execnz .LBB1_386
	s_branch .LBB1_388
.LBB1_385:
	s_branch .LBB1_388
.LBB1_386:                              ; =>This Inner Loop Header: Depth=1
	v_mov_b32_e32 v0, 1
	s_and_saveexec_b64 s[14:15], s[4:5]
	s_cbranch_execz .LBB1_383
; %bb.387:                              ;   in Loop: Header=BB1_386 Depth=1
	global_load_dword v0, v[8:9], off offset:20 glc
	s_waitcnt vmcnt(0)
	buffer_invl2
	buffer_wbinvl1_vol
	v_and_b32_e32 v0, 1, v0
	s_branch .LBB1_383
.LBB1_388:
	global_load_dwordx2 v[0:1], v[6:7], off
	s_and_saveexec_b64 s[14:15], s[4:5]
	s_cbranch_execz .LBB1_391
; %bb.389:
	v_mov_b32_e32 v8, 0
	global_load_dwordx2 v[6:7], v8, s[10:11] offset:40
	global_load_dwordx2 v[10:11], v8, s[10:11] offset:24 glc
	global_load_dwordx2 v[12:13], v8, s[10:11]
	v_mov_b32_e32 v3, s13
	s_mov_b64 s[4:5], 0
	s_waitcnt vmcnt(2)
	v_add_co_u32_e32 v5, vcc, 1, v6
	v_addc_co_u32_e32 v9, vcc, 0, v7, vcc
	v_add_co_u32_e32 v2, vcc, s12, v5
	v_addc_co_u32_e32 v3, vcc, v9, v3, vcc
	v_cmp_eq_u64_e32 vcc, 0, v[2:3]
	v_cndmask_b32_e32 v3, v3, v9, vcc
	v_cndmask_b32_e32 v2, v2, v5, vcc
	v_and_b32_e32 v5, v3, v7
	v_and_b32_e32 v6, v2, v6
	v_mul_lo_u32 v5, v5, 24
	v_mul_hi_u32 v7, v6, 24
	v_mul_lo_u32 v6, v6, 24
	v_add_u32_e32 v5, v7, v5
	s_waitcnt vmcnt(0)
	v_add_co_u32_e32 v6, vcc, v12, v6
	v_addc_co_u32_e32 v7, vcc, v13, v5, vcc
	v_mov_b32_e32 v4, v10
	global_store_dwordx2 v[6:7], v[10:11], off
	v_mov_b32_e32 v5, v11
	buffer_wbl2
	s_waitcnt vmcnt(0)
	global_atomic_cmpswap_x2 v[4:5], v8, v[2:5], s[10:11] offset:24 glc
	s_waitcnt vmcnt(0)
	v_cmp_ne_u64_e32 vcc, v[4:5], v[10:11]
	s_and_b64 exec, exec, vcc
	s_cbranch_execz .LBB1_391
.LBB1_390:                              ; =>This Inner Loop Header: Depth=1
	s_sleep 1
	global_store_dwordx2 v[6:7], v[4:5], off
	buffer_wbl2
	s_waitcnt vmcnt(0)
	global_atomic_cmpswap_x2 v[10:11], v8, v[2:5], s[10:11] offset:24 glc
	s_waitcnt vmcnt(0)
	v_cmp_eq_u64_e32 vcc, v[10:11], v[4:5]
	s_or_b64 s[4:5], vcc, s[4:5]
	v_pk_mov_b32 v[4:5], v[10:11], v[10:11] op_sel:[0,1]
	s_andn2_b64 exec, exec, s[4:5]
	s_cbranch_execnz .LBB1_390
.LBB1_391:
	s_or_b64 exec, exec, s[14:15]
.LBB1_392:
	s_or_b64 exec, exec, s[6:7]
	s_getpc_b64 s[4:5]
	s_add_u32 s4, s4, .str.1@rel32@lo+4
	s_addc_u32 s5, s5, .str.1@rel32@hi+12
	s_getpc_b64 s[6:7]
	s_add_u32 s6, s6, .str.1@rel32@lo+32
	s_addc_u32 s7, s7, .str.1@rel32@hi+40
	s_sub_i32 s10, s6, s4
	s_ashr_i32 s11, s10, 31
	s_waitcnt vmcnt(0)
	v_mov_b32_e32 v2, s4
	v_mov_b32_e32 v3, s5
	;; [unrolled: 1-line block ×5, first 2 shown]
	s_getpc_b64 s[6:7]
	s_add_u32 s6, s6, __ockl_fprintf_append_string_n@rel32@lo+4
	s_addc_u32 s7, s7, __ockl_fprintf_append_string_n@rel32@hi+12
	s_swappc_b64 s[30:31], s[6:7]
	s_trap 2
.Lfunc_end1:
	.size	__assert_fail, .Lfunc_end1-__assert_fail
                                        ; -- End function
	.section	.AMDGPU.csdata,"",@progbits
; Function info:
; codeLenInByte = 15360
; NumSgprs: 38
; NumVgprs: 41
; NumAgprs: 0
; TotalNumVgprs: 41
; ScratchSize: 64
; MemoryBound: 0
	.text
	.p2align	2                               ; -- Begin function _ZN12_GLOBAL__N_17runRingI12hip_bfloat167FuncSumIS1_E11ProtoSimpleILi1ELi1ELi0ELi1ELi0ELi0EELi0ELi1ELi0EEEviiP15ncclDevWorkColl
	.type	_ZN12_GLOBAL__N_17runRingI12hip_bfloat167FuncSumIS1_E11ProtoSimpleILi1ELi1ELi0ELi1ELi0ELi0EELi0ELi1ELi0EEEviiP15ncclDevWorkColl,@function
_ZN12_GLOBAL__N_17runRingI12hip_bfloat167FuncSumIS1_E11ProtoSimpleILi1ELi1ELi0ELi1ELi0ELi0EELi0ELi1ELi0EEEviiP15ncclDevWorkColl: ; @_ZN12_GLOBAL__N_17runRingI12hip_bfloat167FuncSumIS1_E11ProtoSimpleILi1ELi1ELi0ELi1ELi0ELi0EELi0ELi1ELi0EEEviiP15ncclDevWorkColl
; %bb.0:
	s_waitcnt vmcnt(0) expcnt(0) lgkmcnt(0)
	s_mov_b32 s4, s33
	s_mov_b32 s33, s32
	s_or_saveexec_b64 s[6:7], -1
	buffer_store_dword v63, off, s[0:3], s33 offset:32 ; 4-byte Folded Spill
	s_mov_b64 exec, s[6:7]
	v_writelane_b32 v63, s4, 38
	v_accvgpr_write_b32 a23, v40            ;  Reload Reuse
	s_addk_i32 s32, 0xc00
	v_accvgpr_write_b32 a26, v41            ;  Reload Reuse
	v_accvgpr_write_b32 a27, v42            ;  Reload Reuse
	v_accvgpr_write_b32 a28, v43            ;  Reload Reuse
	v_accvgpr_write_b32 a29, v44            ;  Reload Reuse
	v_accvgpr_write_b32 a30, v45            ;  Reload Reuse
	v_accvgpr_write_b32 a31, v46            ;  Reload Reuse
	buffer_store_dword v47, off, s[0:3], s33 offset:28 ; 4-byte Folded Spill
	buffer_store_dword v56, off, s[0:3], s33 offset:24 ; 4-byte Folded Spill
	;; [unrolled: 1-line block ×7, first 2 shown]
	buffer_store_dword v62, off, s[0:3], s33 ; 4-byte Folded Spill
	v_writelane_b32 v63, s34, 0
	v_writelane_b32 v63, s35, 1
	;; [unrolled: 1-line block ×38, first 2 shown]
	s_trap 2
	ds_read_b64 v[14:15], v0
	ds_read_b32 v6, v0
	v_mov_b32_e32 v56, v1
	flat_load_ushort v17, v[2:3] offset:8
	flat_load_dwordx2 v[8:9], v[2:3]
                                        ; implicit-def: $vgpr18_vgpr19
                                        ; implicit-def: $vgpr44_vgpr45
                                        ; implicit-def: $vgpr52_vgpr53
	s_waitcnt lgkmcnt(0)
	v_ashrrev_i32_e32 v5, 31, v15
	v_mov_b32_e32 v4, v15
	v_lshlrev_b64 v[4:5], 2, v[4:5]
	v_add_co_u32_e32 v1, vcc, v14, v4
	v_addc_co_u32_e32 v5, vcc, v15, v5, vcc
	v_add_co_u32_e32 v4, vcc, -4, v1
	v_addc_co_u32_e32 v5, vcc, -1, v5, vcc
	flat_load_dword v24, v[4:5]
	s_waitcnt vmcnt(0)
	v_mov_b32_e32 v16, v9
	v_cmp_ne_u32_sdwa s[4:5], v8, v6 src0_sel:BYTE_0 src1_sel:DWORD
	s_and_saveexec_b64 s[6:7], s[4:5]
	s_xor_b64 s[4:5], exec, s[6:7]
	s_cbranch_execz .LBB2_6
; %bb.1:
	v_not_b32_sdwa v1, v8 dst_sel:DWORD dst_unused:UNUSED_PAD src0_sel:BYTE_0
	v_cmp_ne_u32_sdwa s[6:7], v8, v6 src0_sel:BYTE_1 src1_sel:DWORD
                                        ; implicit-def: $vgpr18_vgpr19
                                        ; implicit-def: $vgpr44_vgpr45
                                        ; implicit-def: $vgpr52_vgpr53
	s_and_saveexec_b64 s[10:11], s[6:7]
	s_xor_b64 s[6:7], exec, s[10:11]
	s_cbranch_execz .LBB2_3
; %bb.2:
	flat_load_dwordx4 v[8:11], v[2:3] offset:72
	flat_load_dwordx2 v[4:5], v[2:3] offset:96
	v_add_u32_e32 v1, v6, v1
	v_ashrrev_i32_e32 v6, 31, v1
	s_waitcnt vmcnt(0) lgkmcnt(0)
	v_mul_lo_u32 v6, v10, v6
	v_mad_u64_u32 v[52:53], s[10:11], v10, v1, v[8:9]
	v_mul_lo_u32 v1, v11, v1
	v_lshrrev_b64 v[18:19], 13, v[4:5]
	v_add3_u32 v53, v1, v53, v6
	v_pk_mov_b32 v[44:45], v[10:11], v[10:11] op_sel:[0,1]
                                        ; implicit-def: $vgpr8
                                        ; implicit-def: $vgpr1
.LBB2_3:
	s_andn2_saveexec_b64 s[6:7], s[6:7]
	s_cbranch_execz .LBB2_5
; %bb.4:
	flat_load_dwordx4 v[10:13], v[2:3] offset:72
	flat_load_dwordx4 v[44:47], v[2:3] offset:88
	v_add_u32_sdwa v1, v8, v1 dst_sel:DWORD dst_unused:UNUSED_PAD src0_sel:BYTE_1 src1_sel:DWORD
	v_ashrrev_i32_e32 v4, 31, v1
	s_waitcnt vmcnt(0) lgkmcnt(0)
	v_mul_lo_u32 v4, v12, v4
	v_mad_u64_u32 v[52:53], s[10:11], v12, v1, v[10:11]
	v_mul_lo_u32 v1, v13, v1
	v_add3_u32 v53, v1, v53, v4
	v_lshrrev_b32_e32 v18, 2, v47
.LBB2_5:
	s_or_b64 exec, exec, s[6:7]
.LBB2_6:
	s_andn2_saveexec_b64 s[4:5], s[4:5]
	s_cbranch_execz .LBB2_8
; %bb.7:
	flat_load_dwordx2 v[4:5], v[2:3] offset:96
	flat_load_dwordx2 v[44:45], v[2:3] offset:72
	v_pk_mov_b32 v[52:53], 0, 0
	s_waitcnt vmcnt(0) lgkmcnt(0)
	v_lshlrev_b64 v[18:19], 8, v[4:5]
.LBB2_8:
	s_or_b64 exec, exec, s[4:5]
	s_trap 2
	ds_read_b64 v[4:5], v0
	s_waitcnt lgkmcnt(0)
	v_cmp_ne_u32_e32 vcc, -1, v4
	v_cndmask_b32_e64 v15, 0, 1, vcc
	v_cmp_ne_u32_e32 vcc, -1, v5
	v_addc_co_u32_e64 v1, s[4:5], 0, v15, vcc
	v_lshlrev_b32_e32 v4, 1, v1
	v_cmp_le_i32_e64 s[4:5], v4, v56
	s_and_saveexec_b64 s[6:7], s[4:5]
	s_xor_b64 s[24:25], exec, s[6:7]
	s_cbranch_execz .LBB2_818
; %bb.9:
	flat_load_dwordx4 v[10:13], v[2:3] offset:16
	flat_load_dwordx2 v[20:21], v[2:3] offset:104
	s_trap 2
	s_load_dword s4, s[8:9], 0x0
	v_mov_b32_e32 v2, 0
	v_mov_b32_e32 v54, 4
	s_waitcnt lgkmcnt(0)
	s_cmp_lt_u32 s12, s4
	s_cselect_b32 s4, 12, 18
	s_add_u32 s4, s8, s4
	s_addc_u32 s5, s9, 0
	global_load_ushort v58, v2, s[4:5]
	ds_read_b32 v2, v0
	v_cmp_ge_i32_e64 s[4:5], v0, v15
	s_waitcnt lgkmcnt(0)
	v_readfirstlane_b32 s12, v2
	s_and_saveexec_b64 s[6:7], s[4:5]
	s_cbranch_execz .LBB2_19
; %bb.10:
	v_cmp_le_u32_e64 s[4:5], v1, v0
                                        ; implicit-def: $vgpr54
	s_and_saveexec_b64 s[10:11], s[4:5]
	s_xor_b64 s[4:5], exec, s[10:11]
	s_cbranch_execz .LBB2_16
; %bb.11:
	v_cndmask_b32_e64 v2, 0, 1, vcc
	v_sub_u32_e32 v2, v56, v2
	v_cmp_ge_u32_e32 vcc, v0, v2
                                        ; implicit-def: $sgpr13
	s_and_saveexec_b64 s[10:11], vcc
	s_xor_b64 s[10:11], exec, s[10:11]
; %bb.12:
	s_mov_b32 s13, 16
                                        ; implicit-def: $vgpr1
; %bb.13:
	s_or_saveexec_b64 s[10:11], s[10:11]
	v_mov_b32_e32 v54, s13
	s_xor_b64 exec, exec, s[10:11]
; %bb.14:
	v_sub_u32_e32 v1, v56, v1
	v_cmp_ge_i32_e32 vcc, v0, v1
	v_cndmask_b32_e64 v1, 0, 1, vcc
	v_lshlrev_b32_e32 v54, 5, v1
; %bb.15:
	s_or_b64 exec, exec, s[10:11]
.LBB2_16:
	s_andn2_saveexec_b64 s[4:5], s[4:5]
; %bb.17:
	v_mov_b32_e32 v54, 8
; %bb.18:
	s_or_b64 exec, exec, s[4:5]
.LBB2_19:
	s_or_b64 exec, exec, s[6:7]
	v_and_b32_e32 v1, 36, v54
	v_cmp_ne_u32_e32 vcc, 0, v1
	v_mov_b32_e32 v22, -1
	s_and_saveexec_b64 s[4:5], vcc
	s_cbranch_execz .LBB2_21
; %bb.20:
	s_trap 2
	ds_read_b32 v22, v0
.LBB2_21:
	s_or_b64 exec, exec, s[4:5]
	v_and_b32_e32 v1, 24, v54
	v_cmp_ne_u32_e64 s[4:5], 0, v1
	s_and_saveexec_b64 s[6:7], s[4:5]
	s_cbranch_execz .LBB2_23
; %bb.22:
	s_trap 2
	s_waitcnt lgkmcnt(0)
	ds_read_b32 v22, v0
.LBB2_23:
	s_or_b64 exec, exec, s[6:7]
	v_lshrrev_b64 v[2:3], 31, v[16:17]
	v_pk_mov_b32 v[60:61], 0, 0
	v_and_b32_e32 v1, 3, v2
	s_waitcnt lgkmcnt(0)
	v_ashrrev_i32_e32 v23, 31, v22
	v_pk_mov_b32 v[6:7], v[60:61], v[60:61] op_sel:[0,1]
                                        ; implicit-def: $agpr6_agpr7
                                        ; implicit-def: $agpr14
                                        ; implicit-def: $vgpr36_vgpr37
                                        ; implicit-def: $vgpr34_vgpr35
                                        ; implicit-def: $vgpr32_vgpr33
	s_and_saveexec_b64 s[4:5], vcc
	s_cbranch_execz .LBB2_33
; %bb.24:
	s_trap 2
	ds_read_b64 v[2:3], v0
	v_lshlrev_b64 v[4:5], 3, v[22:23]
	s_movk_i32 s6, 0xa8
                                        ; implicit-def: $agpr6_agpr7
	s_waitcnt lgkmcnt(0)
	v_add_co_u32_e32 v2, vcc, v2, v4
	v_addc_co_u32_e32 v3, vcc, v3, v5, vcc
	flat_load_dwordx2 v[2:3], v[2:3]
	v_and_b32_e32 v4, 0xffff, v1
	s_waitcnt vmcnt(0) lgkmcnt(0)
	v_mad_u64_u32 v[2:3], s[6:7], v4, s6, v[2:3]
	flat_load_dword v4, v[2:3] offset:640
	v_add_co_u32_e32 v60, vcc, 0x1f8, v2
	v_addc_co_u32_e32 v61, vcc, 0, v3, vcc
	s_waitcnt vmcnt(0) lgkmcnt(0)
	v_cmp_eq_u32_e32 vcc, 1, v4
	s_and_saveexec_b64 s[6:7], vcc
	s_cbranch_execz .LBB2_26
; %bb.25:
	flat_load_dwordx2 v[4:5], v[60:61] offset:144
	v_or_b32_e32 v54, 0x2000, v54
	s_waitcnt vmcnt(0) lgkmcnt(0)
	flat_load_dwordx2 v[2:3], v[4:5]
	s_trap 2
	v_accvgpr_write_b32 a7, v5
	v_accvgpr_write_b32 a6, v4
	s_waitcnt vmcnt(0) lgkmcnt(0)
	ds_write_b64 v0, v[2:3]
	flat_load_dwordx2 v[2:3], v[4:5] offset:8
	s_waitcnt vmcnt(0) lgkmcnt(0)
	ds_write_b64 v0, v[2:3]
	flat_load_dwordx2 v[2:3], v[4:5] offset:16
	s_waitcnt vmcnt(0) lgkmcnt(0)
	ds_write_b64 v0, v[2:3]
.LBB2_26:
	s_or_b64 exec, exec, s[6:7]
	flat_load_dwordx2 v[8:9], v[60:61] offset:104
	v_and_b32_e32 v2, 32, v54
	v_cmp_ne_u32_e32 vcc, 0, v2
                                        ; implicit-def: $vgpr32_vgpr33
	s_and_saveexec_b64 s[6:7], vcc
	s_cbranch_execz .LBB2_28
; %bb.27:
	flat_load_dwordx2 v[32:33], v[60:61] offset:56
	s_waitcnt vmcnt(0) lgkmcnt(0)
	flat_store_dwordx2 v[32:33], v[8:9]
.LBB2_28:
	s_or_b64 exec, exec, s[6:7]
	v_and_b32_e32 v2, 4, v54
	v_cmp_ne_u32_e32 vcc, 0, v2
	v_pk_mov_b32 v[6:7], 0, 0
                                        ; implicit-def: $agpr14
                                        ; implicit-def: $vgpr36_vgpr37
                                        ; implicit-def: $vgpr34_vgpr35
	s_and_saveexec_b64 s[6:7], vcc
	s_cbranch_execz .LBB2_32
; %bb.29:
	v_and_b32_e32 v2, 0x800, v54
	v_cmp_eq_u32_e32 vcc, 0, v2
	s_and_saveexec_b64 s[10:11], vcc
	s_cbranch_execz .LBB2_31
; %bb.30:
	s_trap 2
	ds_write_b64 v0, v[60:61]
.LBB2_31:
	s_or_b64 exec, exec, s[10:11]
	flat_load_dwordx2 v[32:33], v[60:61] offset:48
	v_or_b32_e32 v3, 0x100, v54
	s_waitcnt vmcnt(0) lgkmcnt(0)
	flat_load_dwordx2 v[36:37], v[32:33] glc
	flat_load_dword v2, v[60:61] offset:72
	flat_load_dwordx2 v[6:7], v[60:61] offset:96
	flat_load_dwordx2 v[34:35], v[60:61] offset:16
	s_waitcnt vmcnt(0) lgkmcnt(0)
	v_ashrrev_i32_e32 v2, 1, v2
	v_cmp_eq_u64_e32 vcc, 0, v[6:7]
	v_accvgpr_write_b32 a14, v2
	v_cndmask_b32_e32 v54, v3, v54, vcc
.LBB2_32:
	s_or_b64 exec, exec, s[6:7]
.LBB2_33:
	s_or_b64 exec, exec, s[4:5]
	v_and_b32_e32 v2, 24, v54
	v_cmp_ne_u32_e32 vcc, 0, v2
                                        ; implicit-def: $agpr16_agpr17
	s_and_saveexec_b64 s[4:5], vcc
	s_cbranch_execz .LBB2_41
; %bb.34:
	s_trap 2
	ds_read_b64 v[2:3], v0
	v_lshlrev_b64 v[4:5], 3, v[22:23]
	v_and_b32_e32 v1, 0xffff, v1
	s_movk_i32 s6, 0xa8
                                        ; implicit-def: $agpr16_agpr17
	s_waitcnt lgkmcnt(0)
	v_add_co_u32_e32 v2, vcc, v2, v4
	v_addc_co_u32_e32 v3, vcc, v3, v5, vcc
	flat_load_dwordx2 v[2:3], v[2:3]
	s_waitcnt vmcnt(0) lgkmcnt(0)
	v_mad_u64_u32 v[60:61], s[6:7], v1, s6, v[2:3]
	flat_load_dwordx4 v[6:9], v[60:61] offset:96
	v_or_b32_e32 v1, 0x100, v54
	s_waitcnt vmcnt(0) lgkmcnt(0)
	v_cmp_eq_u64_e32 vcc, 0, v[6:7]
	v_cndmask_b32_e32 v54, v1, v54, vcc
	v_and_b32_e32 v1, 16, v54
	v_cmp_ne_u32_e32 vcc, 0, v1
	s_and_saveexec_b64 s[6:7], vcc
	s_cbranch_execz .LBB2_36
; %bb.35:
	flat_load_dwordx2 a[16:17], v[60:61] offset:120
	flat_load_dwordx2 v[32:33], v[60:61] offset:48
	;; [unrolled: 1-line block ×3, first 2 shown]
.LBB2_36:
	s_or_b64 exec, exec, s[6:7]
	v_and_b32_e32 v1, 8, v54
	v_cmp_ne_u32_e32 vcc, 0, v1
	s_and_saveexec_b64 s[6:7], vcc
	s_cbranch_execz .LBB2_40
; %bb.37:
	v_and_b32_e32 v1, 0x800, v54
	v_cmp_eq_u32_e32 vcc, 0, v1
	s_and_saveexec_b64 s[10:11], vcc
	s_cbranch_execz .LBB2_39
; %bb.38:
	s_trap 2
	ds_write_b64 v0, v[60:61]
.LBB2_39:
	s_or_b64 exec, exec, s[10:11]
	s_waitcnt vmcnt(0) lgkmcnt(0)
	flat_load_dwordx2 v[32:33], v[60:61] offset:56
	s_waitcnt vmcnt(0) lgkmcnt(0)
	flat_load_dwordx2 v[36:37], v[32:33] glc
	flat_load_dword v1, v[60:61] offset:72
	flat_load_dwordx2 v[34:35], v[60:61] offset:16
	s_waitcnt vmcnt(0) lgkmcnt(0)
	v_ashrrev_i32_e32 v2, 1, v1
	v_accvgpr_write_b32 a14, v2
.LBB2_40:
	s_or_b64 exec, exec, s[6:7]
.LBB2_41:
	s_or_b64 exec, exec, s[4:5]
	v_cmp_eq_u32_e64 s[4:5], 0, v0
	s_and_saveexec_b64 s[6:7], s[4:5]
	s_cbranch_execz .LBB2_43
; %bb.42:
	s_waitcnt vmcnt(0)
	v_mov_b32_e32 v2, v12
	v_mov_b32_e32 v3, v13
	;; [unrolled: 1-line block ×4, first 2 shown]
	ds_write2_b64 v0, v[2:3], v[4:5] offset1:1
	v_mov_b32_e32 v2, 0
	v_mov_b32_e32 v3, v2
	s_trap 2
	ds_write_b64 v0, v[2:3]
	ds_write_b64 v0, v[20:21]
.LBB2_43:
	s_or_b64 exec, exec, s[6:7]
	s_ashr_i32 s6, s12, 31
	s_lshr_b32 s6, s6, 29
	s_add_i32 s12, s12, s6
	v_bfe_u32 v1, v16, 1, 30
	v_and_b32_e32 v48, 0x1fffff00, v18
	v_mov_b32_e32 v49, 0
	s_ashr_i32 s62, s12, 4
	v_cmp_ne_u32_e32 vcc, v24, v1
                                        ; implicit-def: $vgpr38_vgpr39
	s_and_saveexec_b64 s[6:7], vcc
	s_xor_b64 s[26:27], exec, s[6:7]
	s_cbranch_execz .LBB2_611
; %bb.44:
	v_cmp_ne_u32_e32 vcc, v14, v1
	v_cmp_ne_u64_e64 s[6:7], 0, v[44:45]
                                        ; implicit-def: $vgpr38_vgpr39
	s_and_saveexec_b64 s[10:11], vcc
	s_xor_b64 s[28:29], exec, s[10:11]
	s_cbranch_execz .LBB2_333
; %bb.45:
	v_pk_mov_b32 v[38:39], 0, 0
	s_and_saveexec_b64 s[30:31], s[6:7]
	s_cbranch_execz .LBB2_332
; %bb.46:
	v_and_b32_e32 v1, 63, v31
	v_cmp_eq_u32_e64 s[14:15], 0, v1
	v_ashrrev_i32_e32 v1, 31, v0
	v_lshrrev_b32_e32 v1, 26, v1
	v_accvgpr_read_b32 v2, a14
	v_add_u32_e32 v1, v0, v1
	v_ashrrev_i32_e32 v57, 31, v2
	s_waitcnt vmcnt(0)
	v_accvgpr_write_b32 a2, v58
	v_cmp_ne_u32_sdwa s[34:35], v58, v56 src0_sel:WORD_0 src1_sel:DWORD
	v_and_b32_e32 v2, 0xffffffc0, v1
	v_ashrrev_i32_e32 v58, 6, v1
	v_sub_u32_e32 v2, v0, v2
	v_lshlrev_b32_e32 v1, 11, v58
	v_cmp_le_i32_e64 s[16:17], v2, v15
	v_cmp_lt_i32_e64 s[18:19], v2, v15
	v_accvgpr_write_b32 a15, v2
	v_lshl_add_u32 v2, v2, 4, v1
	v_ashrrev_i32_e32 v1, 31, v2
	v_lshrrev_b32_e32 v30, 6, v56
	v_accvgpr_write_b32 a19, v1
	v_mov_b32_e32 v1, 0xfffff800
	v_lshl_add_u32 v1, v30, 11, v1
	s_movk_i32 s20, 0x800
	v_accvgpr_write_b32 a20, v2
	v_ashrrev_i32_e32 v2, 31, v1
	v_add_co_u32_e64 v27, s[20:21], s20, v1
	v_addc_co_u32_e64 v55, s[20:21], 0, v2, s[20:21]
	v_lshlrev_b32_e32 v59, 10, v30
	v_add_u32_e32 v1, 0xfffffc00, v59
	s_movk_i32 s20, 0x400
	v_ashrrev_i32_e32 v2, 31, v1
	v_add_co_u32_e64 v26, s[20:21], s20, v1
	v_addc_co_u32_e64 v62, s[20:21], 0, v2, s[20:21]
	v_mov_b32_e32 v1, 0xffffff00
	v_lshl_add_u32 v1, v30, 8, v1
	s_movk_i32 s20, 0x100
	v_accvgpr_write_b32 a1, v31
	v_ashrrev_i32_e32 v2, 31, v1
	v_add_co_u32_e64 v31, s[20:21], s20, v1
	v_addc_co_u32_e64 v2, s[20:21], 0, v2, s[20:21]
	v_lshlrev_b32_e32 v24, 7, v30
	v_add_u32_e32 v1, 0xffffff80, v24
	s_movk_i32 s20, 0x80
	s_waitcnt lgkmcnt(0)
	v_accvgpr_write_b32 a13, v9
	s_lshr_b32 s10, s62, 27
	v_ashrrev_i32_e32 v3, 31, v1
	v_add_co_u32_e64 v50, s[20:21], s20, v1
	v_accvgpr_read_b32 v4, a16
	v_accvgpr_write_b32 a12, v8
	v_accvgpr_write_b32 a11, v7
	;; [unrolled: 1-line block ×3, first 2 shown]
	s_add_i32 s10, s62, s10
	v_cmp_eq_u32_e32 vcc, 64, v56
	v_addc_co_u32_e64 v51, s[20:21], 0, v3, s[20:21]
	v_accvgpr_read_b32 v5, a17
	v_pk_mov_b32 v[6:7], v[44:45], v[44:45] op_sel:[0,1]
	v_pk_mov_b32 v[44:45], 0, 0
	s_ashr_i32 s63, s10, 5
	v_cmp_ge_i32_e64 s[10:11], v0, v56
	v_cmp_ne_u32_e64 s[12:13], 64, v56
	v_accvgpr_write_b32 a0, v56
	v_mov_b32_e32 v40, 0
	s_mov_b64 s[36:37], 0
	v_cmp_eq_u64_e64 s[20:21], 0, v[4:5]
	s_movk_i32 s64, 0x270e
	s_movk_i32 s65, 0x108
	s_xor_b64 s[38:39], vcc, -1
	s_mov_b32 s66, 0x7f800000
	s_movk_i32 s67, 0x7fff
	s_mov_b32 s68, 0xffff0000
	v_lshlrev_b64 v[52:53], 1, v[52:53]
	v_mov_b32_e32 v25, 1
	v_pk_mov_b32 v[38:39], v[44:45], v[44:45] op_sel:[0,1]
	v_accvgpr_write_b32 a22, v24
	s_trap 2
	s_branch .LBB2_49
.LBB2_47:                               ;   in Loop: Header=BB2_49 Depth=1
	s_or_b64 exec, exec, s[22:23]
.LBB2_48:                               ;   in Loop: Header=BB2_49 Depth=1
	s_or_b64 exec, exec, s[42:43]
	v_add_co_u32_e32 v44, vcc, v44, v48
	v_accvgpr_read_b32 v7, a5
	v_addc_co_u32_e32 v45, vcc, 0, v45, vcc
	v_accvgpr_read_b32 v6, a4
	v_cmp_ge_u64_e32 vcc, v[44:45], v[6:7]
	s_or_b64 s[36:37], vcc, s[36:37]
	s_andn2_b64 exec, exec, s[36:37]
	s_cbranch_execz .LBB2_331
.LBB2_49:                               ; =>This Loop Header: Depth=1
                                        ;     Child Loop BB2_58 Depth 2
                                        ;     Child Loop BB2_86 Depth 2
                                        ;     Child Loop BB2_105 Depth 2
                                        ;     Child Loop BB2_126 Depth 2
                                        ;     Child Loop BB2_195 Depth 2
                                        ;     Child Loop BB2_235 Depth 2
                                        ;     Child Loop BB2_248 Depth 2
                                        ;     Child Loop BB2_261 Depth 2
                                        ;     Child Loop BB2_286 Depth 2
                                        ;     Child Loop BB2_314 Depth 2
	v_sub_co_u32_e32 v4, vcc, v6, v44
	v_subb_co_u32_e32 v5, vcc, v7, v45, vcc
	v_cmp_lt_u64_e32 vcc, v[48:49], v[4:5]
	v_cndmask_b32_e64 v47, v5, 0, vcc
	v_cndmask_b32_e32 v46, v4, v48, vcc
	v_add_u32_e32 v1, 15, v46
	v_cmp_eq_u64_e32 vcc, 0, v[46:47]
	v_accvgpr_write_b32 a4, v6
	v_and_b32_e32 v1, 0x3ffffff0, v1
	s_or_b64 s[40:41], s[10:11], vcc
	v_accvgpr_write_b32 a5, v7
	v_max_i32_e32 v28, s63, v1
	s_xor_b64 s[22:23], s[40:41], -1
	v_mov_b32_e32 v1, 0
	s_and_saveexec_b64 s[42:43], s[22:23]
	s_cbranch_execz .LBB2_279
; %bb.50:                               ;   in Loop: Header=BB2_49 Depth=1
	s_and_saveexec_b64 s[22:23], s[4:5]
	s_cbranch_execz .LBB2_52
; %bb.51:                               ;   in Loop: Header=BB2_49 Depth=1
	s_trap 2
	ds_read_b64 v[4:5], v0
	v_mov_b32_e32 v41, v40
	ds_write_b64 v0, v[40:41]
	s_waitcnt lgkmcnt(0)
	v_add_co_u32_e32 v1, vcc, v4, v52
	v_addc_co_u32_e32 v3, vcc, v5, v53, vcc
	v_lshlrev_b64 v[4:5], 1, v[44:45]
	v_add_co_u32_e32 v4, vcc, v1, v4
	v_addc_co_u32_e32 v5, vcc, v3, v5, vcc
	ds_write_b64 v0, v[4:5]
.LBB2_52:                               ;   in Loop: Header=BB2_49 Depth=1
	s_or_b64 exec, exec, s[22:23]
	v_and_b32_e32 v1, 12, v54
	v_cmp_ne_u32_e32 vcc, 0, v1
	s_mov_b64 s[44:45], -1
	s_and_saveexec_b64 s[22:23], vcc
	s_cbranch_execz .LBB2_64
; %bb.53:                               ;   in Loop: Header=BB2_49 Depth=1
	v_and_b32_e32 v10, 8, v54
	v_add_co_u32_e32 v4, vcc, v36, v10
	v_accvgpr_read_b32 v6, a10
	v_addc_co_u32_e32 v5, vcc, 0, v37, vcc
	v_accvgpr_read_b32 v8, a12
	v_accvgpr_read_b32 v9, a13
	v_add_co_u32_e32 v12, vcc, 1, v8
	v_addc_co_u32_e32 v13, vcc, 0, v9, vcc
	v_cmp_lt_u64_e32 vcc, v[4:5], v[12:13]
	v_mov_b32_e32 v1, 1
	v_accvgpr_read_b32 v7, a11
	s_and_saveexec_b64 s[44:45], vcc
	s_cbranch_execz .LBB2_63
; %bb.54:                               ;   in Loop: Header=BB2_49 Depth=1
	s_mov_b64 s[46:47], 0
	v_mov_b32_e32 v1, 0
                                        ; implicit-def: $sgpr48_sgpr49
	s_branch .LBB2_58
.LBB2_55:                               ;   in Loop: Header=BB2_58 Depth=2
	s_or_b64 exec, exec, s[56:57]
	v_mov_b32_e32 v3, 0
	s_orn2_b64 s[54:55], s[54:55], exec
.LBB2_56:                               ;   in Loop: Header=BB2_58 Depth=2
	s_or_b64 exec, exec, s[52:53]
	s_andn2_b64 vcc, s[48:49], exec
	s_and_b64 s[48:49], s[54:55], exec
	s_or_b64 s[48:49], vcc, s[48:49]
	v_mov_b32_e32 v1, v3
.LBB2_57:                               ;   in Loop: Header=BB2_58 Depth=2
	s_or_b64 exec, exec, s[50:51]
	s_waitcnt vmcnt(0) lgkmcnt(0)
	v_add_co_u32_e32 v4, vcc, v36, v10
	v_addc_co_u32_e32 v5, vcc, 0, v37, vcc
	v_cmp_ge_u64_e32 vcc, v[4:5], v[12:13]
	s_xor_b64 s[50:51], s[48:49], -1
	s_or_b64 vcc, s[50:51], vcc
	s_and_b64 vcc, exec, vcc
	s_or_b64 s[46:47], vcc, s[46:47]
	s_andn2_b64 exec, exec, s[46:47]
	s_cbranch_execz .LBB2_62
.LBB2_58:                               ;   Parent Loop BB2_49 Depth=1
                                        ; =>  This Inner Loop Header: Depth=2
	s_sleep 1
	flat_load_dwordx2 v[36:37], v[32:33] glc
	v_and_b32_e32 v3, 64, v54
	v_cmp_eq_u32_e32 vcc, 0, v3
	s_andn2_b64 s[48:49], s[48:49], exec
	s_and_saveexec_b64 s[50:51], vcc
	s_cbranch_execz .LBB2_57
; %bb.59:                               ;   in Loop: Header=BB2_58 Depth=2
	v_add_u32_e32 v3, 1, v1
	v_cmp_lt_i32_e32 vcc, s64, v1
	s_mov_b64 s[54:55], -1
	s_and_saveexec_b64 s[52:53], vcc
	s_cbranch_execz .LBB2_56
; %bb.60:                               ;   in Loop: Header=BB2_58 Depth=2
	s_trap 2
	ds_read_b64 v[4:5], v0
	s_waitcnt vmcnt(0) lgkmcnt(0)
	flat_load_dword v1, v[4:5] glc
	s_waitcnt vmcnt(0) lgkmcnt(0)
	buffer_invl2
	buffer_wbinvl1_vol
	v_cmp_ne_u32_e32 vcc, 0, v1
	s_and_saveexec_b64 s[56:57], vcc
	s_cbranch_execz .LBB2_55
; %bb.61:                               ;   in Loop: Header=BB2_58 Depth=2
	v_or_b32_e32 v54, 64, v54
	s_xor_b64 s[54:55], exec, -1
	ds_write_b32 v0, v1
	s_trap 2
	s_branch .LBB2_55
.LBB2_62:                               ;   in Loop: Header=BB2_49 Depth=1
	s_or_b64 exec, exec, s[46:47]
	v_and_b32_e32 v1, 12, v54
.LBB2_63:                               ;   in Loop: Header=BB2_49 Depth=1
	s_or_b64 exec, exec, s[44:45]
	v_cmp_eq_u32_e32 vcc, 0, v1
	s_orn2_b64 s[44:45], vcc, exec
	;;#ASMSTART
	s_wakeup
	;;#ASMEND
.LBB2_64:                               ;   in Loop: Header=BB2_49 Depth=1
	s_or_b64 exec, exec, s[22:23]
	s_xor_b64 s[22:23], s[44:45], -1
	v_min_u32_e32 v28, v28, v46
	s_and_saveexec_b64 s[44:45], s[22:23]
	s_cbranch_execz .LBB2_78
; %bb.65:                               ;   in Loop: Header=BB2_49 Depth=1
	v_accvgpr_read_b32 v4, a10
	v_and_b32_e32 v1, 0x108, v54
	v_accvgpr_read_b32 v6, a12
	v_cmp_ne_u32_e32 vcc, s65, v1
	v_and_b32_e32 v10, 7, v6
	v_accvgpr_read_b32 v5, a11
	v_accvgpr_read_b32 v7, a13
	s_and_saveexec_b64 s[22:23], vcc
	s_xor_b64 s[22:23], exec, s[22:23]
                                        ; implicit-def: $vgpr12_vgpr13
; %bb.66:                               ;   in Loop: Header=BB2_49 Depth=1
	v_mov_b32_e32 v13, v40
; %bb.67:                               ;   in Loop: Header=BB2_49 Depth=1
	s_andn2_saveexec_b64 s[22:23], s[22:23]
	s_cbranch_execz .LBB2_69
; %bb.68:                               ;   in Loop: Header=BB2_49 Depth=1
	v_accvgpr_read_b32 v4, a10
	v_accvgpr_read_b32 v5, a11
	;; [unrolled: 1-line block ×4, first 2 shown]
	v_mov_b32_e32 v13, v40
	v_mad_u64_u32 v[4:5], vcc, v10, 24, v[4:5]
	v_lshlrev_b32_e32 v6, 1, v28
	v_mov_b32_e32 v7, v40
	flat_store_dwordx2 v[4:5], v[6:7] offset:8
.LBB2_69:                               ;   in Loop: Header=BB2_49 Depth=1
	s_or_b64 exec, exec, s[22:23]
	v_and_b32_e32 v1, 0x100, v54
	v_cmp_ne_u32_e32 vcc, 0, v1
	s_mov_b64 s[22:23], -1
                                        ; implicit-def: $vgpr14_vgpr15
	s_and_saveexec_b64 s[46:47], vcc
	s_cbranch_execz .LBB2_73
; %bb.70:                               ;   in Loop: Header=BB2_49 Depth=1
	v_accvgpr_read_b32 v4, a10
	v_accvgpr_read_b32 v5, a11
	v_mad_u64_u32 v[16:17], s[22:23], v10, 24, v[4:5]
	v_mov_b32_e32 v4, v17
	v_mad_u64_u32 v[4:5], s[22:23], v13, 24, v[4:5]
	v_mov_b32_e32 v17, v4
	flat_load_dword v1, v[16:17]
	v_accvgpr_read_b32 v6, a12
	v_accvgpr_read_b32 v7, a13
                                        ; implicit-def: $vgpr14_vgpr15
	s_waitcnt vmcnt(0) lgkmcnt(0)
	v_cmp_ne_u32_e32 vcc, 1, v1
	v_cmp_eq_u32_e64 s[22:23], 1, v1
	s_and_saveexec_b64 s[48:49], s[22:23]
	s_cbranch_execz .LBB2_72
; %bb.71:                               ;   in Loop: Header=BB2_49 Depth=1
	flat_load_dword v4, v[16:17] offset:4 glc
	s_waitcnt vmcnt(0) lgkmcnt(0)
	v_ashrrev_i32_e32 v5, 31, v4
	v_lshrrev_b64 v[14:15], 1, v[4:5]
.LBB2_72:                               ;   in Loop: Header=BB2_49 Depth=1
	s_or_b64 exec, exec, s[48:49]
	s_orn2_b64 s[22:23], vcc, exec
.LBB2_73:                               ;   in Loop: Header=BB2_49 Depth=1
	s_or_b64 exec, exec, s[46:47]
	s_and_saveexec_b64 vcc, s[22:23]
; %bb.74:                               ;   in Loop: Header=BB2_49 Depth=1
	v_accvgpr_read_b32 v4, a14
	v_mul_lo_u32 v1, v13, v4
	v_mul_lo_u32 v3, v10, v57
	v_mad_u64_u32 v[14:15], s[22:23], v10, v4, 0
	v_add3_u32 v15, v15, v3, v1
; %bb.75:                               ;   in Loop: Header=BB2_49 Depth=1
	s_or_b64 exec, exec, vcc
	v_lshlrev_b64 v[4:5], 1, v[14:15]
	v_add_co_u32_e32 v4, vcc, v34, v4
	v_addc_co_u32_e32 v5, vcc, v35, v5, vcc
	v_and_b32_e32 v1, 0x2000, v54
	v_cmp_ne_u32_e32 vcc, 0, v1
	s_trap 2
	ds_write_b64 v0, v[4:5]
	s_and_saveexec_b64 s[22:23], vcc
	s_cbranch_execz .LBB2_77
; %bb.76:                               ;   in Loop: Header=BB2_49 Depth=1
	ds_read_b64 v[4:5], v0 offset:584
	s_waitcnt lgkmcnt(0)
	v_add_co_u32_e32 v4, vcc, 1, v4
	v_addc_co_u32_e32 v5, vcc, 0, v5, vcc
	ds_write_b64 v0, v[4:5] offset:584
.LBB2_77:                               ;   in Loop: Header=BB2_49 Depth=1
	s_or_b64 exec, exec, s[22:23]
	v_accvgpr_read_b32 v4, a10
	v_accvgpr_read_b32 v6, a12
	;; [unrolled: 1-line block ×3, first 2 shown]
	v_add_co_u32_e32 v6, vcc, 1, v6
	v_addc_co_u32_e32 v7, vcc, 0, v7, vcc
	v_accvgpr_read_b32 v5, a11
	v_accvgpr_write_b32 a13, v7
	v_accvgpr_write_b32 a12, v6
	v_accvgpr_write_b32 a11, v5
	v_accvgpr_write_b32 a10, v4
.LBB2_78:                               ;   in Loop: Header=BB2_49 Depth=1
	s_or_b64 exec, exec, s[44:45]
	s_and_saveexec_b64 s[22:23], s[12:13]
	s_cbranch_execz .LBB2_97
; %bb.79:                               ;   in Loop: Header=BB2_49 Depth=1
	s_and_saveexec_b64 vcc, s[34:35]
	s_xor_b64 s[44:45], exec, vcc
	s_cbranch_execz .LBB2_94
; %bb.80:                               ;   in Loop: Header=BB2_49 Depth=1
	s_and_saveexec_b64 s[46:47], s[14:15]
	s_cbranch_execz .LBB2_93
; %bb.81:                               ;   in Loop: Header=BB2_49 Depth=1
	s_mov_b64 s[50:51], exec
	v_mbcnt_lo_u32_b32 v1, s50, 0
	v_mbcnt_hi_u32_b32 v1, s51, v1
	v_cmp_eq_u32_e32 vcc, 0, v1
	s_waitcnt vmcnt(0) lgkmcnt(0)
	buffer_wbinvl1_vol
	s_and_saveexec_b64 s[48:49], vcc
	s_cbranch_execz .LBB2_83
; %bb.82:                               ;   in Loop: Header=BB2_49 Depth=1
	s_bcnt1_i32_b64 vcc_lo, s[50:51]
	v_mov_b32_e32 v4, vcc_lo
	v_mov_b32_e32 v5, v40
	ds_add_u64 v0, v[4:5]
	s_trap 2
.LBB2_83:                               ;   in Loop: Header=BB2_49 Depth=1
	s_or_b64 exec, exec, s[48:49]
	s_trap 2
	ds_read_b64 v[4:5], v0
	v_add_co_u32_e32 v38, vcc, v38, v30
	v_addc_co_u32_e32 v39, vcc, 0, v39, vcc
	s_waitcnt lgkmcnt(0)
	v_cmp_lt_u64_e32 vcc, v[4:5], v[38:39]
	s_and_saveexec_b64 s[48:49], vcc
	s_cbranch_execz .LBB2_92
; %bb.84:                               ;   in Loop: Header=BB2_49 Depth=1
	s_mov_b32 s60, 0
	s_mov_b64 s[50:51], 0
                                        ; implicit-def: $sgpr52_sgpr53
                                        ; implicit-def: $sgpr54_sgpr55
	s_branch .LBB2_86
.LBB2_85:                               ;   in Loop: Header=BB2_86 Depth=2
	s_or_b64 exec, exec, s[58:59]
	s_and_b64 vcc, exec, vcc
	s_or_b64 s[50:51], vcc, s[50:51]
	s_andn2_b64 vcc, s[52:53], exec
	s_and_b64 s[52:53], s[54:55], exec
	s_or_b64 s[52:53], vcc, s[52:53]
	s_andn2_b64 exec, exec, s[50:51]
	s_cbranch_execz .LBB2_90
.LBB2_86:                               ;   Parent Loop BB2_49 Depth=1
                                        ; =>  This Inner Loop Header: Depth=2
	s_add_i32 s60, s60, 1
	s_cmpk_lg_i32 s60, 0x2710
	s_cselect_b64 s[56:57], -1, 0
	s_and_b64 vcc, exec, s[56:57]
                                        ; implicit-def: $sgpr58_sgpr59
	s_cbranch_vccnz .LBB2_88
; %bb.87:                               ;   in Loop: Header=BB2_86 Depth=2
	s_trap 2
	ds_read_b64 v[4:5], v0
	s_andn2_b64 s[56:57], s[56:57], exec
	s_mov_b32 s60, 0
	s_mov_b64 s[58:59], -1
	s_waitcnt lgkmcnt(0)
	flat_load_dword v1, v[4:5] glc
	s_waitcnt vmcnt(0) lgkmcnt(0)
	buffer_invl2
	buffer_wbinvl1_vol
	v_cmp_eq_u32_e32 vcc, 0, v1
	s_and_b64 vcc, vcc, exec
	s_or_b64 s[56:57], s[56:57], vcc
.LBB2_88:                               ;   in Loop: Header=BB2_86 Depth=2
	s_andn2_b64 s[54:55], s[54:55], exec
	s_and_b64 s[58:59], s[58:59], exec
	s_mov_b64 vcc, -1
	s_or_b64 s[54:55], s[54:55], s[58:59]
	s_and_saveexec_b64 s[58:59], s[56:57]
	s_cbranch_execz .LBB2_85
; %bb.89:                               ;   in Loop: Header=BB2_86 Depth=2
	s_sleep 1
	s_trap 2
	ds_read_b64 v[4:5], v0
	s_andn2_b64 s[54:55], s[54:55], exec
	s_waitcnt lgkmcnt(0)
	v_cmp_ge_u64_e32 vcc, v[4:5], v[38:39]
	s_orn2_b64 vcc, vcc, exec
	s_branch .LBB2_85
.LBB2_90:                               ;   in Loop: Header=BB2_49 Depth=1
	s_or_b64 exec, exec, s[50:51]
	s_and_saveexec_b64 vcc, s[52:53]
	s_xor_b64 vcc, exec, vcc
	s_cbranch_execz .LBB2_92
; %bb.91:                               ;   in Loop: Header=BB2_49 Depth=1
	ds_write_b32 v0, v25
	s_trap 2
.LBB2_92:                               ;   in Loop: Header=BB2_49 Depth=1
	s_or_b64 exec, exec, s[48:49]
	;;#ASMSTART
	s_wakeup
	;;#ASMEND
.LBB2_93:                               ;   in Loop: Header=BB2_49 Depth=1
	s_or_b64 exec, exec, s[46:47]
.LBB2_94:                               ;   in Loop: Header=BB2_49 Depth=1
	s_andn2_saveexec_b64 vcc, s[44:45]
	s_cbranch_execz .LBB2_96
; %bb.95:                               ;   in Loop: Header=BB2_49 Depth=1
	s_waitcnt vmcnt(0) lgkmcnt(0)
	buffer_wbinvl1_vol
	s_barrier
.LBB2_96:                               ;   in Loop: Header=BB2_49 Depth=1
	s_or_b64 exec, exec, vcc
.LBB2_97:                               ;   in Loop: Header=BB2_49 Depth=1
	s_or_b64 exec, exec, s[22:23]
	s_trap 2
	ds_read_b32 v1, v0
	v_and_b32_e32 v3, 0x4000, v54
	v_cmp_ne_u32_e32 vcc, 0, v3
	s_and_b64 vcc, s[38:39], vcc
	s_and_saveexec_b64 s[22:23], vcc
	s_cbranch_execz .LBB2_116
; %bb.98:                               ;   in Loop: Header=BB2_49 Depth=1
	s_and_saveexec_b64 vcc, s[34:35]
	s_xor_b64 s[44:45], exec, vcc
	s_cbranch_execz .LBB2_113
; %bb.99:                               ;   in Loop: Header=BB2_49 Depth=1
	s_and_saveexec_b64 s[46:47], s[14:15]
	s_cbranch_execz .LBB2_112
; %bb.100:                              ;   in Loop: Header=BB2_49 Depth=1
	s_mov_b64 s[50:51], exec
	v_mbcnt_lo_u32_b32 v3, s50, 0
	v_mbcnt_hi_u32_b32 v3, s51, v3
	v_cmp_eq_u32_e32 vcc, 0, v3
	s_waitcnt vmcnt(0) lgkmcnt(0)
	buffer_wbinvl1_vol
	s_and_saveexec_b64 s[48:49], vcc
	s_cbranch_execz .LBB2_102
; %bb.101:                              ;   in Loop: Header=BB2_49 Depth=1
	s_bcnt1_i32_b64 vcc_lo, s[50:51]
	v_mov_b32_e32 v4, vcc_lo
	v_mov_b32_e32 v5, v40
	ds_add_u64 v0, v[4:5]
	s_trap 2
.LBB2_102:                              ;   in Loop: Header=BB2_49 Depth=1
	s_or_b64 exec, exec, s[48:49]
	s_trap 2
	ds_read_b64 v[4:5], v0
	v_add_co_u32_e32 v38, vcc, v38, v30
	v_addc_co_u32_e32 v39, vcc, 0, v39, vcc
	s_waitcnt lgkmcnt(0)
	v_cmp_lt_u64_e32 vcc, v[4:5], v[38:39]
	s_and_saveexec_b64 s[48:49], vcc
	s_cbranch_execz .LBB2_111
; %bb.103:                              ;   in Loop: Header=BB2_49 Depth=1
	s_mov_b32 s60, 0
	s_mov_b64 s[50:51], 0
                                        ; implicit-def: $sgpr52_sgpr53
                                        ; implicit-def: $sgpr54_sgpr55
	s_branch .LBB2_105
.LBB2_104:                              ;   in Loop: Header=BB2_105 Depth=2
	s_or_b64 exec, exec, s[58:59]
	s_and_b64 vcc, exec, vcc
	s_or_b64 s[50:51], vcc, s[50:51]
	s_andn2_b64 vcc, s[52:53], exec
	s_and_b64 s[52:53], s[54:55], exec
	s_or_b64 s[52:53], vcc, s[52:53]
	s_andn2_b64 exec, exec, s[50:51]
	s_cbranch_execz .LBB2_109
.LBB2_105:                              ;   Parent Loop BB2_49 Depth=1
                                        ; =>  This Inner Loop Header: Depth=2
	s_add_i32 s60, s60, 1
	s_cmpk_lg_i32 s60, 0x2710
	s_cselect_b64 s[56:57], -1, 0
	s_and_b64 vcc, exec, s[56:57]
                                        ; implicit-def: $sgpr58_sgpr59
	s_cbranch_vccnz .LBB2_107
; %bb.106:                              ;   in Loop: Header=BB2_105 Depth=2
	s_trap 2
	ds_read_b64 v[4:5], v0
	s_andn2_b64 s[56:57], s[56:57], exec
	s_mov_b32 s60, 0
	s_mov_b64 s[58:59], -1
	s_waitcnt lgkmcnt(0)
	flat_load_dword v3, v[4:5] glc
	s_waitcnt vmcnt(0) lgkmcnt(0)
	buffer_invl2
	buffer_wbinvl1_vol
	v_cmp_eq_u32_e32 vcc, 0, v3
	s_and_b64 vcc, vcc, exec
	s_or_b64 s[56:57], s[56:57], vcc
.LBB2_107:                              ;   in Loop: Header=BB2_105 Depth=2
	s_andn2_b64 s[54:55], s[54:55], exec
	s_and_b64 s[58:59], s[58:59], exec
	s_mov_b64 vcc, -1
	s_or_b64 s[54:55], s[54:55], s[58:59]
	s_and_saveexec_b64 s[58:59], s[56:57]
	s_cbranch_execz .LBB2_104
; %bb.108:                              ;   in Loop: Header=BB2_105 Depth=2
	s_sleep 1
	s_trap 2
	ds_read_b64 v[4:5], v0
	s_andn2_b64 s[54:55], s[54:55], exec
	s_waitcnt lgkmcnt(0)
	v_cmp_ge_u64_e32 vcc, v[4:5], v[38:39]
	s_orn2_b64 vcc, vcc, exec
	s_branch .LBB2_104
.LBB2_109:                              ;   in Loop: Header=BB2_49 Depth=1
	s_or_b64 exec, exec, s[50:51]
	s_and_saveexec_b64 vcc, s[52:53]
	s_xor_b64 vcc, exec, vcc
	s_cbranch_execz .LBB2_111
; %bb.110:                              ;   in Loop: Header=BB2_49 Depth=1
	ds_write_b32 v0, v25
	s_trap 2
.LBB2_111:                              ;   in Loop: Header=BB2_49 Depth=1
	s_or_b64 exec, exec, s[48:49]
	;;#ASMSTART
	s_wakeup
	;;#ASMEND
.LBB2_112:                              ;   in Loop: Header=BB2_49 Depth=1
	s_or_b64 exec, exec, s[46:47]
.LBB2_113:                              ;   in Loop: Header=BB2_49 Depth=1
	s_andn2_saveexec_b64 vcc, s[44:45]
	s_cbranch_execz .LBB2_115
; %bb.114:                              ;   in Loop: Header=BB2_49 Depth=1
	s_waitcnt vmcnt(0) lgkmcnt(0)
	buffer_wbinvl1_vol
	s_barrier
.LBB2_115:                              ;   in Loop: Header=BB2_49 Depth=1
	s_or_b64 exec, exec, vcc
.LBB2_116:                              ;   in Loop: Header=BB2_49 Depth=1
	s_or_b64 exec, exec, s[22:23]
	s_trap 2
	ds_read_b64 v[4:5], v0
	s_waitcnt lgkmcnt(0)
	v_readfirstlane_b32 s22, v4
	v_readfirstlane_b32 s23, v5
	s_cmp_eq_u64 s[22:23], 0
	s_cselect_b64 s[22:23], -1, 0
	s_or_b64 vcc, s[22:23], s[22:23]
	s_mov_b64 s[22:23], 0
	s_and_b64 vcc, exec, vcc
	s_cbranch_vccnz .LBB2_253
; %bb.117:                              ;   in Loop: Header=BB2_49 Depth=1
	s_mov_b64 s[22:23], -1
	s_and_saveexec_b64 s[44:45], s[16:17]
	s_cbranch_execz .LBB2_119
; %bb.118:                              ;   in Loop: Header=BB2_49 Depth=1
	ds_read_b32 v3, v0 offset:720
	s_waitcnt lgkmcnt(0)
	v_and_b32_e32 v3, 15, v3
	v_cmp_eq_u32_e32 vcc, 0, v3
	s_orn2_b64 s[22:23], vcc, exec
.LBB2_119:                              ;   in Loop: Header=BB2_49 Depth=1
	s_or_b64 exec, exec, s[44:45]
	s_and_saveexec_b64 s[44:45], s[18:19]
	s_cbranch_execz .LBB2_121
; %bb.120:                              ;   in Loop: Header=BB2_49 Depth=1
	ds_read_b32 v3, v0 offset:784
	s_waitcnt lgkmcnt(0)
	v_and_b32_e32 v3, 15, v3
	v_cmp_eq_u32_e32 vcc, 0, v3
	s_and_b64 vcc, s[22:23], vcc
	s_andn2_b64 s[22:23], s[22:23], exec
	s_and_b64 vcc, vcc, exec
	s_or_b64 s[22:23], s[22:23], vcc
.LBB2_121:                              ;   in Loop: Header=BB2_49 Depth=1
	s_or_b64 exec, exec, s[44:45]
	v_cmp_eq_u32_e32 vcc, 0, v1
	s_xor_b64 s[22:23], s[22:23], -1
	v_cndmask_b32_e32 v29, 0, v28, vcc
	v_cndmask_b32_e64 v1, 0, 1, s[22:23]
	v_mov_b32_e32 v3, 0
	v_lshlrev_b32_e32 v41, 1, v29
	s_mov_b64 s[46:47], -1
	;;#ASMSTART
	;;#ASMEND
	v_cmp_ne_u32_e32 vcc, 0, v1
	s_cbranch_vccz .LBB2_123
; %bb.122:                              ;   in Loop: Header=BB2_49 Depth=1
	v_mov_b32_e32 v18, v0
	v_mov_b32_e32 v10, v58
	s_and_saveexec_b64 s[22:23], s[46:47]
	s_cbranch_execnz .LBB2_232
	s_branch .LBB2_252
.LBB2_123:                              ;   in Loop: Header=BB2_49 Depth=1
	v_accvgpr_write_b32 a24, v52
	v_accvgpr_write_b32 a25, v53
	v_lshrrev_b32_e32 v52, 10, v29
	v_sub_u32_e32 v47, v52, v58
	v_cmp_lt_i32_e32 vcc, 0, v47
	s_and_saveexec_b64 s[22:23], vcc
	s_cbranch_execz .LBB2_191
; %bb.124:                              ;   in Loop: Header=BB2_49 Depth=1
	s_trap 2
	ds_read_b128 v[4:7], v0
	ds_read_b64 v[8:9], v0
	v_accvgpr_read_b32 v10, a20
	v_accvgpr_read_b32 v1, a19
	v_accvgpr_write_b32 a3, v57
	s_waitcnt lgkmcnt(0)
	v_add_co_u32_e32 v56, vcc, v4, v10
	v_addc_co_u32_e32 v57, vcc, v5, v1, vcc
	v_accvgpr_write_b32 a18, v58
	v_add_co_u32_e32 v58, vcc, v6, v10
	v_accvgpr_write_b32 a21, v59
	v_accvgpr_write_b32 a8, v60
	v_addc_co_u32_e32 v59, vcc, v7, v1, vcc
	v_accvgpr_write_b32 a9, v61
	v_add_co_u32_e32 v60, vcc, v8, v10
	v_addc_co_u32_e32 v61, vcc, v9, v1, vcc
	s_mov_b64 s[44:45], 0
	s_branch .LBB2_126
.LBB2_125:                              ;   in Loop: Header=BB2_126 Depth=2
	s_or_b64 exec, exec, s[46:47]
	v_lshrrev_b32_e32 v4, 16, v53
	v_lshrrev_b32_e32 v1, 16, v1
	v_and_or_b32 v5, v23, s68, v4
	v_and_or_b32 v4, v22, s68, v1
	v_lshrrev_b32_e32 v1, 16, v42
	v_and_or_b32 v6, v20, s68, v1
	v_lshrrev_b32_e32 v1, 16, v24
	v_add_co_u32_e32 v56, vcc, v56, v27
	v_and_or_b32 v7, v21, s68, v1
	v_lshrrev_b32_e32 v1, 16, v18
	v_addc_co_u32_e32 v57, vcc, v57, v55, vcc
	v_and_or_b32 v9, v15, s68, v1
	v_lshrrev_b32_e32 v1, 16, v25
	v_add_co_u32_e32 v58, vcc, v58, v27
	v_and_or_b32 v8, v14, s68, v1
	v_lshrrev_b32_e32 v1, 16, v19
	v_addc_co_u32_e32 v59, vcc, v59, v55, vcc
	v_sub_u32_e32 v47, v47, v30
	v_and_or_b32 v10, v12, s68, v1
	v_lshrrev_b32_e32 v1, 16, v16
	v_cmp_gt_i32_e32 vcc, 1, v47
	v_and_or_b32 v11, v3, s68, v1
	global_store_dwordx4 v[60:61], v[4:7], off glc slc
	global_store_dwordx4 v[60:61], v[8:11], off offset:1024 glc slc
	s_or_b64 s[44:45], vcc, s[44:45]
	v_add_co_u32_e32 v60, vcc, v60, v27
	v_addc_co_u32_e32 v61, vcc, v61, v55, vcc
	s_andn2_b64 exec, exec, s[44:45]
	s_cbranch_execz .LBB2_190
.LBB2_126:                              ;   Parent Loop BB2_49 Depth=1
                                        ; =>  This Inner Loop Header: Depth=2
	global_load_dwordx4 v[18:21], v[58:59], off glc slc
	global_load_dwordx4 v[22:25], v[56:57], off glc slc
	global_load_dwordx4 v[14:17], v[56:57], off offset:1024 glc slc
	global_load_dwordx4 v[10:13], v[58:59], off offset:1024 glc slc
	s_waitcnt vmcnt(0)
	v_lshlrev_b32_e32 v4, 16, v18
	v_lshlrev_b32_e32 v6, 16, v22
	v_pk_add_f32 v[42:43], v[4:5], v[6:7] op_sel_hi:[0,1]
	v_and_b32_e32 v1, 0x7f800000, v42
	v_cmp_ne_u32_e32 vcc, s66, v1
                                        ; implicit-def: $vgpr1
	s_and_saveexec_b64 s[46:47], vcc
	s_xor_b64 vcc, exec, s[46:47]
; %bb.127:                              ;   in Loop: Header=BB2_126 Depth=2
	v_bfe_u32 v1, v42, 16, 1
	v_add3_u32 v1, v42, v1, s67
                                        ; implicit-def: $vgpr42_vgpr43
; %bb.128:                              ;   in Loop: Header=BB2_126 Depth=2
	s_andn2_saveexec_b64 s[46:47], vcc
; %bb.129:                              ;   in Loop: Header=BB2_126 Depth=2
	v_or_b32_e32 v1, 0x10000, v42
	v_cmp_eq_u32_sdwa vcc, v42, v40 src0_sel:WORD_0 src1_sel:DWORD
	v_cndmask_b32_e32 v1, v1, v42, vcc
; %bb.130:                              ;   in Loop: Header=BB2_126 Depth=2
	s_or_b64 exec, exec, s[46:47]
	v_and_b32_e32 v4, 0xffff0000, v18
	v_and_b32_e32 v6, 0xffff0000, v22
	v_pk_add_f32 v[42:43], v[4:5], v[6:7] op_sel_hi:[0,1]
	v_and_b32_e32 v3, 0x7f800000, v42
	v_cmp_ne_u32_e32 vcc, s66, v3
                                        ; implicit-def: $vgpr22
	s_and_saveexec_b64 s[46:47], vcc
	s_xor_b64 vcc, exec, s[46:47]
; %bb.131:                              ;   in Loop: Header=BB2_126 Depth=2
	v_bfe_u32 v3, v42, 16, 1
	v_add3_u32 v22, v42, v3, s67
                                        ; implicit-def: $vgpr42_vgpr43
; %bb.132:                              ;   in Loop: Header=BB2_126 Depth=2
	s_andn2_saveexec_b64 s[46:47], vcc
; %bb.133:                              ;   in Loop: Header=BB2_126 Depth=2
	v_or_b32_e32 v3, 0x10000, v42
	v_cmp_eq_u32_sdwa vcc, v42, v40 src0_sel:WORD_0 src1_sel:DWORD
	v_cndmask_b32_e32 v22, v3, v42, vcc
; %bb.134:                              ;   in Loop: Header=BB2_126 Depth=2
	s_or_b64 exec, exec, s[46:47]
	v_mov_b32_e32 v3, v19
	v_lshlrev_b32_e32 v4, 16, v3
	v_lshlrev_b32_e32 v6, 16, v23
	v_pk_add_f32 v[18:19], v[4:5], v[6:7] op_sel_hi:[0,1]
	v_and_b32_e32 v4, 0x7f800000, v18
	v_cmp_ne_u32_e32 vcc, s66, v4
                                        ; implicit-def: $vgpr53
	s_and_saveexec_b64 s[46:47], vcc
	s_xor_b64 vcc, exec, s[46:47]
; %bb.135:                              ;   in Loop: Header=BB2_126 Depth=2
	v_bfe_u32 v4, v18, 16, 1
	v_add3_u32 v53, v18, v4, s67
                                        ; implicit-def: $vgpr18_vgpr19
; %bb.136:                              ;   in Loop: Header=BB2_126 Depth=2
	s_andn2_saveexec_b64 s[46:47], vcc
; %bb.137:                              ;   in Loop: Header=BB2_126 Depth=2
	v_or_b32_e32 v4, 0x10000, v18
	v_cmp_eq_u32_sdwa vcc, v18, v40 src0_sel:WORD_0 src1_sel:DWORD
	v_cndmask_b32_e32 v53, v4, v18, vcc
; %bb.138:                              ;   in Loop: Header=BB2_126 Depth=2
	s_or_b64 exec, exec, s[46:47]
	v_and_b32_e32 v4, 0xffff0000, v3
	v_and_b32_e32 v6, 0xffff0000, v23
	v_pk_add_f32 v[18:19], v[4:5], v[6:7] op_sel_hi:[0,1]
	v_and_b32_e32 v3, 0x7f800000, v18
	v_cmp_ne_u32_e32 vcc, s66, v3
                                        ; implicit-def: $vgpr23
	s_and_saveexec_b64 s[46:47], vcc
	s_xor_b64 vcc, exec, s[46:47]
; %bb.139:                              ;   in Loop: Header=BB2_126 Depth=2
	v_bfe_u32 v3, v18, 16, 1
	v_add3_u32 v23, v18, v3, s67
                                        ; implicit-def: $vgpr18_vgpr19
; %bb.140:                              ;   in Loop: Header=BB2_126 Depth=2
	s_andn2_saveexec_b64 s[46:47], vcc
; %bb.141:                              ;   in Loop: Header=BB2_126 Depth=2
	v_or_b32_e32 v3, 0x10000, v18
	v_cmp_eq_u32_sdwa vcc, v18, v40 src0_sel:WORD_0 src1_sel:DWORD
	v_cndmask_b32_e32 v23, v3, v18, vcc
; %bb.142:                              ;   in Loop: Header=BB2_126 Depth=2
	s_or_b64 exec, exec, s[46:47]
	v_lshlrev_b32_e32 v4, 16, v20
	v_lshlrev_b32_e32 v6, 16, v24
	v_pk_add_f32 v[18:19], v[4:5], v[6:7] op_sel_hi:[0,1]
	v_and_b32_e32 v3, 0x7f800000, v18
	v_cmp_ne_u32_e32 vcc, s66, v3
                                        ; implicit-def: $vgpr42
	s_and_saveexec_b64 s[46:47], vcc
	s_xor_b64 vcc, exec, s[46:47]
; %bb.143:                              ;   in Loop: Header=BB2_126 Depth=2
	v_bfe_u32 v3, v18, 16, 1
	v_add3_u32 v42, v18, v3, s67
                                        ; implicit-def: $vgpr18_vgpr19
; %bb.144:                              ;   in Loop: Header=BB2_126 Depth=2
	s_andn2_saveexec_b64 s[46:47], vcc
; %bb.145:                              ;   in Loop: Header=BB2_126 Depth=2
	v_or_b32_e32 v3, 0x10000, v18
	v_cmp_eq_u32_sdwa vcc, v18, v40 src0_sel:WORD_0 src1_sel:DWORD
	v_cndmask_b32_e32 v42, v3, v18, vcc
; %bb.146:                              ;   in Loop: Header=BB2_126 Depth=2
	s_or_b64 exec, exec, s[46:47]
	v_and_b32_e32 v4, 0xffff0000, v20
	v_and_b32_e32 v6, 0xffff0000, v24
	v_pk_add_f32 v[18:19], v[4:5], v[6:7] op_sel_hi:[0,1]
	v_and_b32_e32 v3, 0x7f800000, v18
	v_cmp_ne_u32_e32 vcc, s66, v3
                                        ; implicit-def: $vgpr20
	s_and_saveexec_b64 s[46:47], vcc
	s_xor_b64 vcc, exec, s[46:47]
; %bb.147:                              ;   in Loop: Header=BB2_126 Depth=2
	v_bfe_u32 v3, v18, 16, 1
	v_add3_u32 v20, v18, v3, s67
                                        ; implicit-def: $vgpr18_vgpr19
; %bb.148:                              ;   in Loop: Header=BB2_126 Depth=2
	s_andn2_saveexec_b64 s[46:47], vcc
; %bb.149:                              ;   in Loop: Header=BB2_126 Depth=2
	v_or_b32_e32 v3, 0x10000, v18
	v_cmp_eq_u32_sdwa vcc, v18, v40 src0_sel:WORD_0 src1_sel:DWORD
	v_cndmask_b32_e32 v20, v3, v18, vcc
; %bb.150:                              ;   in Loop: Header=BB2_126 Depth=2
	s_or_b64 exec, exec, s[46:47]
	v_mov_b32_e32 v3, v25
	v_lshlrev_b32_e32 v4, 16, v21
	v_lshlrev_b32_e32 v6, 16, v3
	v_pk_add_f32 v[18:19], v[4:5], v[6:7] op_sel_hi:[0,1]
	v_and_b32_e32 v4, 0x7f800000, v18
	v_cmp_ne_u32_e32 vcc, s66, v4
                                        ; implicit-def: $vgpr24
	s_and_saveexec_b64 s[46:47], vcc
	s_xor_b64 vcc, exec, s[46:47]
; %bb.151:                              ;   in Loop: Header=BB2_126 Depth=2
	v_bfe_u32 v4, v18, 16, 1
	v_add3_u32 v24, v18, v4, s67
                                        ; implicit-def: $vgpr18_vgpr19
; %bb.152:                              ;   in Loop: Header=BB2_126 Depth=2
	s_andn2_saveexec_b64 s[46:47], vcc
; %bb.153:                              ;   in Loop: Header=BB2_126 Depth=2
	v_or_b32_e32 v4, 0x10000, v18
	v_cmp_eq_u32_sdwa vcc, v18, v40 src0_sel:WORD_0 src1_sel:DWORD
	v_cndmask_b32_e32 v24, v4, v18, vcc
; %bb.154:                              ;   in Loop: Header=BB2_126 Depth=2
	s_or_b64 exec, exec, s[46:47]
	v_and_b32_e32 v4, 0xffff0000, v21
	v_and_b32_e32 v6, 0xffff0000, v3
	v_pk_add_f32 v[18:19], v[4:5], v[6:7] op_sel_hi:[0,1]
	v_and_b32_e32 v3, 0x7f800000, v18
	v_cmp_ne_u32_e32 vcc, s66, v3
                                        ; implicit-def: $vgpr21
	s_and_saveexec_b64 s[46:47], vcc
	s_xor_b64 vcc, exec, s[46:47]
; %bb.155:                              ;   in Loop: Header=BB2_126 Depth=2
	v_bfe_u32 v3, v18, 16, 1
	v_add3_u32 v21, v18, v3, s67
                                        ; implicit-def: $vgpr18_vgpr19
; %bb.156:                              ;   in Loop: Header=BB2_126 Depth=2
	s_andn2_saveexec_b64 s[46:47], vcc
; %bb.157:                              ;   in Loop: Header=BB2_126 Depth=2
	v_or_b32_e32 v3, 0x10000, v18
	v_cmp_eq_u32_sdwa vcc, v18, v40 src0_sel:WORD_0 src1_sel:DWORD
	v_cndmask_b32_e32 v21, v3, v18, vcc
; %bb.158:                              ;   in Loop: Header=BB2_126 Depth=2
	s_or_b64 exec, exec, s[46:47]
	v_lshlrev_b32_e32 v4, 16, v10
	v_lshlrev_b32_e32 v6, 16, v14
	v_pk_add_f32 v[18:19], v[4:5], v[6:7] op_sel_hi:[0,1]
	v_and_b32_e32 v3, 0x7f800000, v18
	v_cmp_ne_u32_e32 vcc, s66, v3
                                        ; implicit-def: $vgpr25
	s_and_saveexec_b64 s[46:47], vcc
	s_xor_b64 vcc, exec, s[46:47]
; %bb.159:                              ;   in Loop: Header=BB2_126 Depth=2
	v_bfe_u32 v3, v18, 16, 1
	v_add3_u32 v25, v18, v3, s67
                                        ; implicit-def: $vgpr18_vgpr19
; %bb.160:                              ;   in Loop: Header=BB2_126 Depth=2
	s_andn2_saveexec_b64 s[46:47], vcc
; %bb.161:                              ;   in Loop: Header=BB2_126 Depth=2
	v_or_b32_e32 v3, 0x10000, v18
	v_cmp_eq_u32_sdwa vcc, v18, v40 src0_sel:WORD_0 src1_sel:DWORD
	v_cndmask_b32_e32 v25, v3, v18, vcc
; %bb.162:                              ;   in Loop: Header=BB2_126 Depth=2
	s_or_b64 exec, exec, s[46:47]
	v_and_b32_e32 v4, 0xffff0000, v10
	v_and_b32_e32 v6, 0xffff0000, v14
	v_pk_add_f32 v[18:19], v[4:5], v[6:7] op_sel_hi:[0,1]
	v_and_b32_e32 v3, 0x7f800000, v18
	v_cmp_ne_u32_e32 vcc, s66, v3
                                        ; implicit-def: $vgpr14
	s_and_saveexec_b64 s[46:47], vcc
	s_xor_b64 vcc, exec, s[46:47]
; %bb.163:                              ;   in Loop: Header=BB2_126 Depth=2
	v_bfe_u32 v3, v18, 16, 1
	v_add3_u32 v14, v18, v3, s67
                                        ; implicit-def: $vgpr18_vgpr19
; %bb.164:                              ;   in Loop: Header=BB2_126 Depth=2
	s_andn2_saveexec_b64 s[46:47], vcc
; %bb.165:                              ;   in Loop: Header=BB2_126 Depth=2
	v_or_b32_e32 v3, 0x10000, v18
	v_cmp_eq_u32_sdwa vcc, v18, v40 src0_sel:WORD_0 src1_sel:DWORD
	v_cndmask_b32_e32 v14, v3, v18, vcc
; %bb.166:                              ;   in Loop: Header=BB2_126 Depth=2
	s_or_b64 exec, exec, s[46:47]
	v_mov_b32_e32 v3, v11
	v_lshlrev_b32_e32 v4, 16, v3
	v_lshlrev_b32_e32 v6, 16, v15
	v_pk_add_f32 v[10:11], v[4:5], v[6:7] op_sel_hi:[0,1]
	v_and_b32_e32 v4, 0x7f800000, v10
	v_cmp_ne_u32_e32 vcc, s66, v4
                                        ; implicit-def: $vgpr18
	s_and_saveexec_b64 s[46:47], vcc
	s_xor_b64 vcc, exec, s[46:47]
; %bb.167:                              ;   in Loop: Header=BB2_126 Depth=2
	v_bfe_u32 v4, v10, 16, 1
	v_add3_u32 v18, v10, v4, s67
                                        ; implicit-def: $vgpr10_vgpr11
; %bb.168:                              ;   in Loop: Header=BB2_126 Depth=2
	s_andn2_saveexec_b64 s[46:47], vcc
; %bb.169:                              ;   in Loop: Header=BB2_126 Depth=2
	v_or_b32_e32 v4, 0x10000, v10
	v_cmp_eq_u32_sdwa vcc, v10, v40 src0_sel:WORD_0 src1_sel:DWORD
	v_cndmask_b32_e32 v18, v4, v10, vcc
; %bb.170:                              ;   in Loop: Header=BB2_126 Depth=2
	s_or_b64 exec, exec, s[46:47]
	v_and_b32_e32 v4, 0xffff0000, v3
	v_and_b32_e32 v6, 0xffff0000, v15
	v_pk_add_f32 v[10:11], v[4:5], v[6:7] op_sel_hi:[0,1]
	v_and_b32_e32 v3, 0x7f800000, v10
	v_cmp_ne_u32_e32 vcc, s66, v3
                                        ; implicit-def: $vgpr15
	s_and_saveexec_b64 s[46:47], vcc
	s_xor_b64 vcc, exec, s[46:47]
; %bb.171:                              ;   in Loop: Header=BB2_126 Depth=2
	v_bfe_u32 v3, v10, 16, 1
	v_add3_u32 v15, v10, v3, s67
                                        ; implicit-def: $vgpr10_vgpr11
; %bb.172:                              ;   in Loop: Header=BB2_126 Depth=2
	s_andn2_saveexec_b64 s[46:47], vcc
; %bb.173:                              ;   in Loop: Header=BB2_126 Depth=2
	v_or_b32_e32 v3, 0x10000, v10
	v_cmp_eq_u32_sdwa vcc, v10, v40 src0_sel:WORD_0 src1_sel:DWORD
	v_cndmask_b32_e32 v15, v3, v10, vcc
; %bb.174:                              ;   in Loop: Header=BB2_126 Depth=2
	s_or_b64 exec, exec, s[46:47]
	v_lshlrev_b32_e32 v4, 16, v12
	v_lshlrev_b32_e32 v6, 16, v16
	v_pk_add_f32 v[10:11], v[4:5], v[6:7] op_sel_hi:[0,1]
	v_and_b32_e32 v3, 0x7f800000, v10
	v_cmp_ne_u32_e32 vcc, s66, v3
                                        ; implicit-def: $vgpr19
	s_and_saveexec_b64 s[46:47], vcc
	s_xor_b64 vcc, exec, s[46:47]
; %bb.175:                              ;   in Loop: Header=BB2_126 Depth=2
	v_bfe_u32 v3, v10, 16, 1
	v_add3_u32 v19, v10, v3, s67
                                        ; implicit-def: $vgpr10_vgpr11
; %bb.176:                              ;   in Loop: Header=BB2_126 Depth=2
	s_andn2_saveexec_b64 s[46:47], vcc
; %bb.177:                              ;   in Loop: Header=BB2_126 Depth=2
	v_or_b32_e32 v3, 0x10000, v10
	v_cmp_eq_u32_sdwa vcc, v10, v40 src0_sel:WORD_0 src1_sel:DWORD
	v_cndmask_b32_e32 v19, v3, v10, vcc
; %bb.178:                              ;   in Loop: Header=BB2_126 Depth=2
	s_or_b64 exec, exec, s[46:47]
	v_and_b32_e32 v4, 0xffff0000, v12
	v_and_b32_e32 v6, 0xffff0000, v16
	v_pk_add_f32 v[10:11], v[4:5], v[6:7] op_sel_hi:[0,1]
	v_and_b32_e32 v3, 0x7f800000, v10
	v_cmp_ne_u32_e32 vcc, s66, v3
                                        ; implicit-def: $vgpr12
	s_and_saveexec_b64 s[46:47], vcc
	s_xor_b64 vcc, exec, s[46:47]
; %bb.179:                              ;   in Loop: Header=BB2_126 Depth=2
	v_bfe_u32 v3, v10, 16, 1
	v_add3_u32 v12, v10, v3, s67
                                        ; implicit-def: $vgpr10_vgpr11
; %bb.180:                              ;   in Loop: Header=BB2_126 Depth=2
	s_andn2_saveexec_b64 s[46:47], vcc
; %bb.181:                              ;   in Loop: Header=BB2_126 Depth=2
	v_or_b32_e32 v3, 0x10000, v10
	v_cmp_eq_u32_sdwa vcc, v10, v40 src0_sel:WORD_0 src1_sel:DWORD
	v_cndmask_b32_e32 v12, v3, v10, vcc
; %bb.182:                              ;   in Loop: Header=BB2_126 Depth=2
	s_or_b64 exec, exec, s[46:47]
	v_mov_b32_e32 v3, v17
	v_lshlrev_b32_e32 v4, 16, v13
	v_lshlrev_b32_e32 v6, 16, v3
	v_pk_add_f32 v[10:11], v[4:5], v[6:7] op_sel_hi:[0,1]
	v_and_b32_e32 v4, 0x7f800000, v10
	v_cmp_ne_u32_e32 vcc, s66, v4
                                        ; implicit-def: $vgpr16
	s_and_saveexec_b64 s[46:47], vcc
	s_xor_b64 vcc, exec, s[46:47]
; %bb.183:                              ;   in Loop: Header=BB2_126 Depth=2
	v_bfe_u32 v4, v10, 16, 1
	v_add3_u32 v16, v10, v4, s67
                                        ; implicit-def: $vgpr10_vgpr11
; %bb.184:                              ;   in Loop: Header=BB2_126 Depth=2
	s_andn2_saveexec_b64 s[46:47], vcc
; %bb.185:                              ;   in Loop: Header=BB2_126 Depth=2
	v_or_b32_e32 v4, 0x10000, v10
	v_cmp_eq_u32_sdwa vcc, v10, v40 src0_sel:WORD_0 src1_sel:DWORD
	v_cndmask_b32_e32 v16, v4, v10, vcc
; %bb.186:                              ;   in Loop: Header=BB2_126 Depth=2
	s_or_b64 exec, exec, s[46:47]
	v_and_b32_e32 v4, 0xffff0000, v13
	v_and_b32_e32 v6, 0xffff0000, v3
	v_pk_add_f32 v[10:11], v[4:5], v[6:7] op_sel_hi:[0,1]
	v_and_b32_e32 v3, 0x7f800000, v10
	v_cmp_ne_u32_e32 vcc, s66, v3
                                        ; implicit-def: $vgpr3
	s_and_saveexec_b64 s[46:47], vcc
	s_xor_b64 vcc, exec, s[46:47]
; %bb.187:                              ;   in Loop: Header=BB2_126 Depth=2
	v_bfe_u32 v3, v10, 16, 1
	v_add3_u32 v3, v10, v3, s67
                                        ; implicit-def: $vgpr10_vgpr11
; %bb.188:                              ;   in Loop: Header=BB2_126 Depth=2
	s_andn2_saveexec_b64 s[46:47], vcc
	s_cbranch_execz .LBB2_125
; %bb.189:                              ;   in Loop: Header=BB2_126 Depth=2
	v_or_b32_e32 v3, 0x10000, v10
	v_cmp_eq_u32_sdwa vcc, v10, v40 src0_sel:WORD_0 src1_sel:DWORD
	v_cndmask_b32_e32 v3, v3, v10, vcc
	s_branch .LBB2_125
.LBB2_190:                              ;   in Loop: Header=BB2_49 Depth=1
	s_or_b64 exec, exec, s[44:45]
	v_accvgpr_read_b32 v61, a9
	v_accvgpr_read_b32 v60, a8
	;; [unrolled: 1-line block ×6, first 2 shown]
.LBB2_191:                              ;   in Loop: Header=BB2_49 Depth=1
	s_or_b64 exec, exec, s[22:23]
	v_lshlrev_b32_e32 v1, 11, v52
	v_cmp_ne_u32_e32 vcc, v41, v1
	s_mov_b64 s[46:47], 0
	v_mov_b32_e32 v3, 0
                                        ; implicit-def: $vgpr18
                                        ; implicit-def: $vgpr10
	s_and_saveexec_b64 s[44:45], vcc
	s_cbranch_execz .LBB2_231
; %bb.192:                              ;   in Loop: Header=BB2_49 Depth=1
	v_lshlrev_b32_e32 v3, 6, v47
	v_accvgpr_read_b32 v5, a15
	v_sub_u32_e32 v3, v5, v3
	v_ashrrev_i32_e32 v5, 31, v3
	v_lshrrev_b32_e32 v5, 26, v5
	v_add_u32_e32 v5, v3, v5
	v_sub_u32_e32 v4, v41, v1
	v_ashrrev_i32_e32 v6, 6, v5
	v_and_b32_e32 v5, 0xffffffc0, v5
	v_sub_u32_e32 v52, v3, v5
	v_ashrrev_i32_e32 v5, 31, v4
	v_lshrrev_b32_e32 v5, 22, v5
	v_add_u32_e32 v5, v4, v5
	v_and_b32_e32 v53, 0xfffffc00, v5
	v_lshlrev_b32_e32 v3, 4, v52
	v_sub_u32_e32 v43, v4, v53
	v_lshl_add_u32 v3, v6, 10, v3
	v_ashrrev_i32_e32 v7, 10, v5
	v_cmp_lt_i32_e32 vcc, 15, v43
	v_sub_u32_e32 v47, v4, v3
	v_addc_co_u32_e64 v4, s[22:23], 0, v7, vcc
	v_sub_u32_e32 v42, v4, v6
	v_cmp_lt_i32_e64 s[22:23], 15, v47
	s_and_saveexec_b64 s[46:47], s[22:23]
	s_cbranch_execz .LBB2_228
; %bb.193:                              ;   in Loop: Header=BB2_49 Depth=1
	s_trap 2
	ds_read_b128 v[4:7], v0
	ds_read_b64 v[8:9], v0
	v_add_u32_e32 v3, v3, v1
	v_ashrrev_i32_e32 v10, 31, v3
	s_mov_b64 s[48:49], 0
	s_waitcnt lgkmcnt(0)
	v_add_co_u32_e64 v18, s[22:23], v4, v3
	v_addc_co_u32_e64 v19, s[22:23], v5, v10, s[22:23]
	v_add_co_u32_e64 v20, s[22:23], v6, v3
	v_addc_co_u32_e64 v21, s[22:23], v7, v10, s[22:23]
	;; [unrolled: 2-line block ×3, first 2 shown]
	s_branch .LBB2_195
.LBB2_194:                              ;   in Loop: Header=BB2_195 Depth=2
	s_or_b64 exec, exec, s[50:51]
	v_add_co_u32_e64 v18, s[22:23], v18, v26
	v_lshrrev_b32_e32 v4, 16, v24
	v_addc_co_u32_e64 v19, s[22:23], v19, v62, s[22:23]
	v_and_or_b32 v5, v15, s68, v4
	v_lshrrev_b32_e32 v4, 16, v56
	v_lshrrev_b32_e32 v6, 16, v25
	;; [unrolled: 1-line block ×3, first 2 shown]
	v_add_co_u32_e64 v20, s[22:23], v20, v26
	v_and_or_b32 v4, v14, s68, v4
	v_and_or_b32 v6, v12, s68, v6
	;; [unrolled: 1-line block ×3, first 2 shown]
	v_addc_co_u32_e64 v21, s[22:23], v21, v62, s[22:23]
	global_store_dwordx4 v[22:23], v[4:7], off glc slc
	v_add_co_u32_e64 v22, s[22:23], v22, v26
	v_addc_co_u32_e64 v23, s[22:23], v23, v62, s[22:23]
	v_sub_u32_e32 v47, v47, v59
	v_cmp_gt_i32_e64 s[22:23], 16, v47
	s_or_b64 s[48:49], s[22:23], s[48:49]
	v_sub_u32_e32 v42, v42, v30
	s_andn2_b64 exec, exec, s[48:49]
	s_cbranch_execz .LBB2_227
.LBB2_195:                              ;   Parent Loop BB2_49 Depth=1
                                        ; =>  This Inner Loop Header: Depth=2
	global_load_dwordx4 v[10:13], v[20:21], off glc slc
	global_load_dwordx4 v[14:17], v[18:19], off glc slc
                                        ; implicit-def: $vgpr56
	s_waitcnt vmcnt(0)
	v_lshlrev_b32_e32 v4, 16, v10
	v_lshlrev_b32_e32 v6, 16, v14
	v_pk_add_f32 v[24:25], v[4:5], v[6:7] op_sel_hi:[0,1]
	v_and_b32_e32 v3, 0x7f800000, v24
	v_cmp_ne_u32_e64 s[22:23], s66, v3
	s_and_saveexec_b64 s[50:51], s[22:23]
	s_xor_b64 s[22:23], exec, s[50:51]
; %bb.196:                              ;   in Loop: Header=BB2_195 Depth=2
	v_bfe_u32 v3, v24, 16, 1
	v_add3_u32 v56, v24, v3, s67
                                        ; implicit-def: $vgpr24_vgpr25
; %bb.197:                              ;   in Loop: Header=BB2_195 Depth=2
	s_andn2_saveexec_b64 s[50:51], s[22:23]
; %bb.198:                              ;   in Loop: Header=BB2_195 Depth=2
	v_or_b32_e32 v3, 0x10000, v24
	v_cmp_eq_u32_sdwa s[22:23], v24, v40 src0_sel:WORD_0 src1_sel:DWORD
	v_cndmask_b32_e64 v56, v3, v24, s[22:23]
; %bb.199:                              ;   in Loop: Header=BB2_195 Depth=2
	s_or_b64 exec, exec, s[50:51]
	v_and_b32_e32 v4, 0xffff0000, v10
	v_and_b32_e32 v6, 0xffff0000, v14
	v_pk_add_f32 v[24:25], v[4:5], v[6:7] op_sel_hi:[0,1]
	v_and_b32_e32 v3, 0x7f800000, v24
	v_cmp_ne_u32_e64 s[22:23], s66, v3
                                        ; implicit-def: $vgpr14
	s_and_saveexec_b64 s[50:51], s[22:23]
	s_xor_b64 s[22:23], exec, s[50:51]
; %bb.200:                              ;   in Loop: Header=BB2_195 Depth=2
	v_bfe_u32 v3, v24, 16, 1
	v_add3_u32 v14, v24, v3, s67
                                        ; implicit-def: $vgpr24_vgpr25
; %bb.201:                              ;   in Loop: Header=BB2_195 Depth=2
	s_andn2_saveexec_b64 s[50:51], s[22:23]
; %bb.202:                              ;   in Loop: Header=BB2_195 Depth=2
	v_or_b32_e32 v3, 0x10000, v24
	v_cmp_eq_u32_sdwa s[22:23], v24, v40 src0_sel:WORD_0 src1_sel:DWORD
	v_cndmask_b32_e64 v14, v3, v24, s[22:23]
; %bb.203:                              ;   in Loop: Header=BB2_195 Depth=2
	s_or_b64 exec, exec, s[50:51]
	v_mov_b32_e32 v3, v11
	v_lshlrev_b32_e32 v4, 16, v3
	v_lshlrev_b32_e32 v6, 16, v15
	v_pk_add_f32 v[10:11], v[4:5], v[6:7] op_sel_hi:[0,1]
	v_and_b32_e32 v4, 0x7f800000, v10
	v_cmp_ne_u32_e64 s[22:23], s66, v4
                                        ; implicit-def: $vgpr24
	s_and_saveexec_b64 s[50:51], s[22:23]
	s_xor_b64 s[22:23], exec, s[50:51]
; %bb.204:                              ;   in Loop: Header=BB2_195 Depth=2
	v_bfe_u32 v4, v10, 16, 1
	v_add3_u32 v24, v10, v4, s67
                                        ; implicit-def: $vgpr10_vgpr11
; %bb.205:                              ;   in Loop: Header=BB2_195 Depth=2
	s_andn2_saveexec_b64 s[50:51], s[22:23]
; %bb.206:                              ;   in Loop: Header=BB2_195 Depth=2
	v_or_b32_e32 v4, 0x10000, v10
	v_cmp_eq_u32_sdwa s[22:23], v10, v40 src0_sel:WORD_0 src1_sel:DWORD
	v_cndmask_b32_e64 v24, v4, v10, s[22:23]
; %bb.207:                              ;   in Loop: Header=BB2_195 Depth=2
	s_or_b64 exec, exec, s[50:51]
	v_and_b32_e32 v4, 0xffff0000, v3
	v_and_b32_e32 v6, 0xffff0000, v15
	v_pk_add_f32 v[10:11], v[4:5], v[6:7] op_sel_hi:[0,1]
	v_and_b32_e32 v3, 0x7f800000, v10
	v_cmp_ne_u32_e64 s[22:23], s66, v3
                                        ; implicit-def: $vgpr15
	s_and_saveexec_b64 s[50:51], s[22:23]
	s_xor_b64 s[22:23], exec, s[50:51]
; %bb.208:                              ;   in Loop: Header=BB2_195 Depth=2
	v_bfe_u32 v3, v10, 16, 1
	v_add3_u32 v15, v10, v3, s67
                                        ; implicit-def: $vgpr10_vgpr11
; %bb.209:                              ;   in Loop: Header=BB2_195 Depth=2
	s_andn2_saveexec_b64 s[50:51], s[22:23]
; %bb.210:                              ;   in Loop: Header=BB2_195 Depth=2
	v_or_b32_e32 v3, 0x10000, v10
	v_cmp_eq_u32_sdwa s[22:23], v10, v40 src0_sel:WORD_0 src1_sel:DWORD
	v_cndmask_b32_e64 v15, v3, v10, s[22:23]
; %bb.211:                              ;   in Loop: Header=BB2_195 Depth=2
	s_or_b64 exec, exec, s[50:51]
	v_lshlrev_b32_e32 v4, 16, v12
	v_lshlrev_b32_e32 v6, 16, v16
	v_pk_add_f32 v[10:11], v[4:5], v[6:7] op_sel_hi:[0,1]
	v_and_b32_e32 v3, 0x7f800000, v10
	v_cmp_ne_u32_e64 s[22:23], s66, v3
                                        ; implicit-def: $vgpr25
	s_and_saveexec_b64 s[50:51], s[22:23]
	s_xor_b64 s[22:23], exec, s[50:51]
; %bb.212:                              ;   in Loop: Header=BB2_195 Depth=2
	v_bfe_u32 v3, v10, 16, 1
	v_add3_u32 v25, v10, v3, s67
                                        ; implicit-def: $vgpr10_vgpr11
; %bb.213:                              ;   in Loop: Header=BB2_195 Depth=2
	s_andn2_saveexec_b64 s[50:51], s[22:23]
; %bb.214:                              ;   in Loop: Header=BB2_195 Depth=2
	v_or_b32_e32 v3, 0x10000, v10
	v_cmp_eq_u32_sdwa s[22:23], v10, v40 src0_sel:WORD_0 src1_sel:DWORD
	v_cndmask_b32_e64 v25, v3, v10, s[22:23]
; %bb.215:                              ;   in Loop: Header=BB2_195 Depth=2
	s_or_b64 exec, exec, s[50:51]
	v_and_b32_e32 v4, 0xffff0000, v12
	v_and_b32_e32 v6, 0xffff0000, v16
	v_pk_add_f32 v[10:11], v[4:5], v[6:7] op_sel_hi:[0,1]
	v_and_b32_e32 v3, 0x7f800000, v10
	v_cmp_ne_u32_e64 s[22:23], s66, v3
                                        ; implicit-def: $vgpr12
	s_and_saveexec_b64 s[50:51], s[22:23]
	s_xor_b64 s[22:23], exec, s[50:51]
; %bb.216:                              ;   in Loop: Header=BB2_195 Depth=2
	v_bfe_u32 v3, v10, 16, 1
	v_add3_u32 v12, v10, v3, s67
                                        ; implicit-def: $vgpr10_vgpr11
; %bb.217:                              ;   in Loop: Header=BB2_195 Depth=2
	s_andn2_saveexec_b64 s[50:51], s[22:23]
; %bb.218:                              ;   in Loop: Header=BB2_195 Depth=2
	v_or_b32_e32 v3, 0x10000, v10
	v_cmp_eq_u32_sdwa s[22:23], v10, v40 src0_sel:WORD_0 src1_sel:DWORD
	v_cndmask_b32_e64 v12, v3, v10, s[22:23]
; %bb.219:                              ;   in Loop: Header=BB2_195 Depth=2
	s_or_b64 exec, exec, s[50:51]
	v_mov_b32_e32 v3, v17
	v_lshlrev_b32_e32 v4, 16, v13
	v_lshlrev_b32_e32 v6, 16, v3
	v_pk_add_f32 v[10:11], v[4:5], v[6:7] op_sel_hi:[0,1]
	v_and_b32_e32 v4, 0x7f800000, v10
	v_cmp_ne_u32_e64 s[22:23], s66, v4
                                        ; implicit-def: $vgpr16
	s_and_saveexec_b64 s[50:51], s[22:23]
	s_xor_b64 s[22:23], exec, s[50:51]
; %bb.220:                              ;   in Loop: Header=BB2_195 Depth=2
	v_bfe_u32 v4, v10, 16, 1
	v_add3_u32 v16, v10, v4, s67
                                        ; implicit-def: $vgpr10_vgpr11
; %bb.221:                              ;   in Loop: Header=BB2_195 Depth=2
	s_andn2_saveexec_b64 s[50:51], s[22:23]
; %bb.222:                              ;   in Loop: Header=BB2_195 Depth=2
	v_or_b32_e32 v4, 0x10000, v10
	v_cmp_eq_u32_sdwa s[22:23], v10, v40 src0_sel:WORD_0 src1_sel:DWORD
	v_cndmask_b32_e64 v16, v4, v10, s[22:23]
; %bb.223:                              ;   in Loop: Header=BB2_195 Depth=2
	s_or_b64 exec, exec, s[50:51]
	v_and_b32_e32 v4, 0xffff0000, v13
	v_and_b32_e32 v6, 0xffff0000, v3
	v_pk_add_f32 v[10:11], v[4:5], v[6:7] op_sel_hi:[0,1]
	v_and_b32_e32 v3, 0x7f800000, v10
	v_cmp_ne_u32_e64 s[22:23], s66, v3
                                        ; implicit-def: $vgpr3
	s_and_saveexec_b64 s[50:51], s[22:23]
	s_xor_b64 s[22:23], exec, s[50:51]
; %bb.224:                              ;   in Loop: Header=BB2_195 Depth=2
	v_bfe_u32 v3, v10, 16, 1
	v_add3_u32 v3, v10, v3, s67
                                        ; implicit-def: $vgpr10_vgpr11
; %bb.225:                              ;   in Loop: Header=BB2_195 Depth=2
	s_andn2_saveexec_b64 s[50:51], s[22:23]
	s_cbranch_execz .LBB2_194
; %bb.226:                              ;   in Loop: Header=BB2_195 Depth=2
	v_or_b32_e32 v3, 0x10000, v10
	v_cmp_eq_u32_sdwa s[22:23], v10, v40 src0_sel:WORD_0 src1_sel:DWORD
	v_cndmask_b32_e64 v3, v3, v10, s[22:23]
	s_branch .LBB2_194
.LBB2_227:                              ;   in Loop: Header=BB2_49 Depth=1
	s_or_b64 exec, exec, s[48:49]
.LBB2_228:                              ;   in Loop: Header=BB2_49 Depth=1
	s_or_b64 exec, exec, s[46:47]
	v_and_b32_e32 v11, 14, v41
	v_cndmask_b32_e32 v41, v43, v11, vcc
	v_cmp_ne_u32_e64 s[22:23], 0, v41
	s_mov_b64 s[46:47], 0
	v_mov_b32_e32 v3, 0
                                        ; implicit-def: $vgpr18
                                        ; implicit-def: $vgpr10
	s_and_saveexec_b64 s[48:49], s[22:23]
	s_cbranch_execz .LBB2_230
; %bb.229:                              ;   in Loop: Header=BB2_49 Depth=1
	v_sub_u32_e32 v3, v43, v11
	v_cndmask_b32_e32 v3, 0, v3, vcc
	v_cmp_lt_i32_e32 vcc, 0, v42
	v_add3_u32 v3, v53, v1, v3
	v_cndmask_b32_e32 v1, 0, v30, vcc
	v_sub_u32_e32 v1, v1, v42
	v_lshl_add_u32 v18, v1, 6, v52
	v_ashrrev_i32_e32 v1, 31, v18
	v_lshrrev_b32_e32 v1, 26, v1
	v_add_u32_e32 v1, v18, v1
	s_mov_b64 s[46:47], exec
	v_ashrrev_i32_e32 v10, 6, v1
.LBB2_230:                              ;   in Loop: Header=BB2_49 Depth=1
	s_or_b64 exec, exec, s[48:49]
	s_and_b64 s[46:47], s[46:47], exec
	v_accvgpr_read_b32 v24, a22
.LBB2_231:                              ;   in Loop: Header=BB2_49 Depth=1
	s_or_b64 exec, exec, s[44:45]
	v_accvgpr_read_b32 v53, a25
	v_mov_b32_e32 v25, 1
	v_accvgpr_read_b32 v52, a24
	s_and_saveexec_b64 s[22:23], s[46:47]
	s_cbranch_execz .LBB2_252
.LBB2_232:                              ;   in Loop: Header=BB2_49 Depth=1
	v_ashrrev_i32_e32 v1, 31, v41
	v_add_u32_sdwa v1, v41, v1 dst_sel:DWORD dst_unused:UNUSED_PAD src0_sel:DWORD src1_sel:BYTE_3
	v_ashrrev_i32_e32 v20, 8, v1
	v_sub_u32_e32 v1, v20, v10
	v_ashrrev_i32_e32 v4, 31, v18
	v_cmp_lt_i32_e32 vcc, 0, v1
	v_lshrrev_b32_e32 v19, 26, v4
	s_and_saveexec_b64 s[44:45], vcc
	s_cbranch_execz .LBB2_244
; %bb.233:                              ;   in Loop: Header=BB2_49 Depth=1
	v_add_u32_e32 v4, v18, v19
	v_and_b32_e32 v4, 0x7fffffc0, v4
	v_sub_u32_e32 v4, v18, v4
	s_trap 2
	v_lshlrev_b32_e32 v8, 1, v4
	ds_read_b128 v[4:7], v0
	v_lshlrev_b32_e32 v9, 8, v10
	v_add3_u32 v14, v8, v3, v9
	ds_read_b64 v[8:9], v0
	v_ashrrev_i32_e32 v15, 31, v14
	s_waitcnt lgkmcnt(0)
	v_add_co_u32_e32 v10, vcc, v4, v14
	v_addc_co_u32_e32 v11, vcc, v5, v15, vcc
	v_add_co_u32_e32 v12, vcc, v6, v14
	v_addc_co_u32_e32 v13, vcc, v7, v15, vcc
	;; [unrolled: 2-line block ×3, first 2 shown]
	s_mov_b64 s[46:47], 0
	s_branch .LBB2_235
.LBB2_234:                              ;   in Loop: Header=BB2_235 Depth=2
	s_or_b64 exec, exec, s[48:49]
	v_add_co_u32_e32 v10, vcc, v10, v31
	v_addc_co_u32_e32 v11, vcc, v11, v2, vcc
	v_add_co_u32_e32 v12, vcc, v12, v31
	v_addc_co_u32_e32 v13, vcc, v13, v2, vcc
	v_sub_u32_e32 v1, v1, v30
	v_cmp_gt_i32_e32 vcc, 1, v1
	flat_store_short_d16_hi v[14:15], v21 glc slc
	flat_store_short_d16_hi v[14:15], v22 offset:128 glc slc
	s_or_b64 s[46:47], vcc, s[46:47]
	v_add_co_u32_e32 v14, vcc, v14, v31
	v_addc_co_u32_e32 v15, vcc, v15, v2, vcc
	s_andn2_b64 exec, exec, s[46:47]
	s_cbranch_execz .LBB2_243
.LBB2_235:                              ;   Parent Loop BB2_49 Depth=1
                                        ; =>  This Inner Loop Header: Depth=2
	flat_load_ushort v4, v[12:13] glc slc
	flat_load_ushort v5, v[10:11] glc slc
	flat_load_ushort v22, v[10:11] offset:128 glc slc
	flat_load_ushort v23, v[12:13] offset:128 glc slc
                                        ; implicit-def: $vgpr21
	s_waitcnt vmcnt(0) lgkmcnt(0)
	v_lshlrev_b32_e32 v4, 16, v4
	v_lshlrev_b32_e32 v6, 16, v5
	v_pk_add_f32 v[16:17], v[4:5], v[6:7] op_sel_hi:[0,1]
	v_and_b32_e32 v4, 0x7f800000, v16
	v_cmp_ne_u32_e32 vcc, s66, v4
	s_and_saveexec_b64 s[48:49], vcc
	s_xor_b64 vcc, exec, s[48:49]
; %bb.236:                              ;   in Loop: Header=BB2_235 Depth=2
	v_bfe_u32 v4, v16, 16, 1
	v_add3_u32 v21, v16, v4, s67
                                        ; implicit-def: $vgpr16_vgpr17
; %bb.237:                              ;   in Loop: Header=BB2_235 Depth=2
	s_andn2_saveexec_b64 s[48:49], vcc
; %bb.238:                              ;   in Loop: Header=BB2_235 Depth=2
	v_or_b32_e32 v4, 0x10000, v16
	v_cmp_eq_u32_sdwa vcc, v16, v40 src0_sel:WORD_0 src1_sel:DWORD
	v_cndmask_b32_e32 v21, v4, v16, vcc
; %bb.239:                              ;   in Loop: Header=BB2_235 Depth=2
	s_or_b64 exec, exec, s[48:49]
	v_lshlrev_b32_e32 v4, 16, v23
	v_lshlrev_b32_e32 v6, 16, v22
	v_pk_add_f32 v[16:17], v[4:5], v[6:7] op_sel_hi:[0,1]
	v_and_b32_e32 v4, 0x7f800000, v16
	v_cmp_ne_u32_e32 vcc, s66, v4
                                        ; implicit-def: $vgpr22
	s_and_saveexec_b64 s[48:49], vcc
	s_xor_b64 vcc, exec, s[48:49]
; %bb.240:                              ;   in Loop: Header=BB2_235 Depth=2
	v_bfe_u32 v4, v16, 16, 1
	v_add3_u32 v22, v16, v4, s67
                                        ; implicit-def: $vgpr16_vgpr17
; %bb.241:                              ;   in Loop: Header=BB2_235 Depth=2
	s_andn2_saveexec_b64 s[48:49], vcc
	s_cbranch_execz .LBB2_234
; %bb.242:                              ;   in Loop: Header=BB2_235 Depth=2
	v_or_b32_e32 v4, 0x10000, v16
	v_cmp_eq_u32_sdwa vcc, v16, v40 src0_sel:WORD_0 src1_sel:DWORD
	v_cndmask_b32_e32 v22, v4, v16, vcc
	s_branch .LBB2_234
.LBB2_243:                              ;   in Loop: Header=BB2_49 Depth=1
	s_or_b64 exec, exec, s[46:47]
.LBB2_244:                              ;   in Loop: Header=BB2_49 Depth=1
	s_or_b64 exec, exec, s[44:45]
	v_lshlrev_b32_e32 v10, 8, v20
	v_cmp_ne_u32_e32 vcc, v41, v10
	s_and_b64 exec, exec, vcc
	s_cbranch_execz .LBB2_252
; %bb.245:                              ;   in Loop: Header=BB2_49 Depth=1
	v_add_u32_e32 v4, v18, v19
	v_and_b32_e32 v4, 0xffffffc0, v4
	v_sub_u32_e32 v4, v18, v4
	v_lshlrev_b32_e32 v1, 6, v1
	v_sub_u32_e32 v1, v4, v1
	v_ashrrev_i32_e32 v4, 31, v1
	v_lshrrev_b32_e32 v4, 26, v4
	v_add_u32_e32 v4, v1, v4
	v_and_b32_e32 v5, 0x7fffffc0, v4
	v_sub_u32_e32 v1, v1, v5
	v_lshlrev_b32_e32 v4, 1, v4
	v_and_b32_e32 v4, 0xffffff80, v4
	v_lshlrev_b32_e32 v1, 1, v1
	v_add3_u32 v10, v4, v1, v10
	v_sub_u32_e32 v1, v41, v10
	v_cmp_lt_i32_e32 vcc, 1, v1
	s_and_b64 exec, exec, vcc
	s_cbranch_execz .LBB2_252
; %bb.246:                              ;   in Loop: Header=BB2_49 Depth=1
	s_trap 2
	ds_read_b128 v[4:7], v0
	ds_read_b64 v[8:9], v0
	v_add_u32_e32 v3, v10, v3
	v_ashrrev_i32_e32 v15, 31, v3
	s_mov_b64 s[44:45], 0
	s_waitcnt lgkmcnt(0)
	v_add_co_u32_e32 v10, vcc, v4, v3
	v_addc_co_u32_e32 v11, vcc, v5, v15, vcc
	v_add_co_u32_e32 v12, vcc, v6, v3
	v_addc_co_u32_e32 v13, vcc, v7, v15, vcc
	;; [unrolled: 2-line block ×3, first 2 shown]
	s_branch .LBB2_248
.LBB2_247:                              ;   in Loop: Header=BB2_248 Depth=2
	s_or_b64 exec, exec, s[46:47]
	v_add_co_u32_e32 v10, vcc, v10, v50
	v_addc_co_u32_e32 v11, vcc, v11, v51, vcc
	v_add_co_u32_e32 v12, vcc, v12, v50
	v_addc_co_u32_e32 v13, vcc, v13, v51, vcc
	v_sub_u32_e32 v1, v1, v24
	v_cmp_gt_i32_e32 vcc, 2, v1
	flat_store_short_d16_hi v[14:15], v3 glc slc
	s_or_b64 s[44:45], vcc, s[44:45]
	v_add_co_u32_e32 v14, vcc, v14, v50
	v_addc_co_u32_e32 v15, vcc, v15, v51, vcc
	s_andn2_b64 exec, exec, s[44:45]
	s_cbranch_execz .LBB2_252
.LBB2_248:                              ;   Parent Loop BB2_49 Depth=1
                                        ; =>  This Inner Loop Header: Depth=2
	flat_load_ushort v3, v[12:13] glc slc
	flat_load_ushort v5, v[10:11] glc slc
	s_waitcnt vmcnt(0) lgkmcnt(0)
	v_lshlrev_b32_e32 v4, 16, v3
	v_lshlrev_b32_e32 v6, 16, v5
	v_pk_add_f32 v[16:17], v[4:5], v[6:7] op_sel_hi:[0,1]
	v_and_b32_e32 v3, 0x7f800000, v16
	v_cmp_ne_u32_e32 vcc, s66, v3
                                        ; implicit-def: $vgpr3
	s_and_saveexec_b64 s[46:47], vcc
	s_xor_b64 vcc, exec, s[46:47]
; %bb.249:                              ;   in Loop: Header=BB2_248 Depth=2
	v_bfe_u32 v3, v16, 16, 1
	v_add3_u32 v3, v16, v3, s67
                                        ; implicit-def: $vgpr16_vgpr17
; %bb.250:                              ;   in Loop: Header=BB2_248 Depth=2
	s_andn2_saveexec_b64 s[46:47], vcc
	s_cbranch_execz .LBB2_247
; %bb.251:                              ;   in Loop: Header=BB2_248 Depth=2
	v_or_b32_e32 v3, 0x10000, v16
	v_cmp_eq_u32_sdwa vcc, v16, v40 src0_sel:WORD_0 src1_sel:DWORD
	v_cndmask_b32_e32 v3, v3, v16, vcc
	s_branch .LBB2_247
.LBB2_252:                              ;   in Loop: Header=BB2_49 Depth=1
	s_or_b64 exec, exec, s[22:23]
	v_cmp_ne_u32_e64 s[22:23], 0, v29
.LBB2_253:                              ;   in Loop: Header=BB2_49 Depth=1
	s_and_saveexec_b64 s[44:45], s[12:13]
	s_cbranch_execz .LBB2_272
; %bb.254:                              ;   in Loop: Header=BB2_49 Depth=1
	s_and_saveexec_b64 vcc, s[34:35]
	s_xor_b64 s[46:47], exec, vcc
	s_cbranch_execz .LBB2_269
; %bb.255:                              ;   in Loop: Header=BB2_49 Depth=1
	s_and_saveexec_b64 s[48:49], s[14:15]
	s_cbranch_execz .LBB2_268
; %bb.256:                              ;   in Loop: Header=BB2_49 Depth=1
	s_mov_b64 s[52:53], exec
	v_mbcnt_lo_u32_b32 v1, s52, 0
	v_mbcnt_hi_u32_b32 v1, s53, v1
	v_cmp_eq_u32_e32 vcc, 0, v1
	s_waitcnt vmcnt(0) lgkmcnt(0)
	buffer_wbinvl1_vol
	s_and_saveexec_b64 s[50:51], vcc
	s_cbranch_execz .LBB2_258
; %bb.257:                              ;   in Loop: Header=BB2_49 Depth=1
	s_bcnt1_i32_b64 vcc_lo, s[52:53]
	v_mov_b32_e32 v4, vcc_lo
	v_mov_b32_e32 v5, v40
	ds_add_u64 v0, v[4:5]
	s_trap 2
.LBB2_258:                              ;   in Loop: Header=BB2_49 Depth=1
	s_or_b64 exec, exec, s[50:51]
	s_trap 2
	ds_read_b64 v[4:5], v0
	v_add_co_u32_e32 v38, vcc, v38, v30
	v_addc_co_u32_e32 v39, vcc, 0, v39, vcc
	s_waitcnt lgkmcnt(0)
	v_cmp_lt_u64_e32 vcc, v[4:5], v[38:39]
	s_and_saveexec_b64 s[50:51], vcc
	s_cbranch_execz .LBB2_267
; %bb.259:                              ;   in Loop: Header=BB2_49 Depth=1
	s_mov_b32 s69, 0
	s_mov_b64 s[52:53], 0
                                        ; implicit-def: $sgpr54_sgpr55
                                        ; implicit-def: $sgpr56_sgpr57
	s_branch .LBB2_261
.LBB2_260:                              ;   in Loop: Header=BB2_261 Depth=2
	s_or_b64 exec, exec, s[60:61]
	s_and_b64 vcc, exec, vcc
	s_or_b64 s[52:53], vcc, s[52:53]
	s_andn2_b64 vcc, s[54:55], exec
	s_and_b64 s[54:55], s[56:57], exec
	s_or_b64 s[54:55], vcc, s[54:55]
	s_andn2_b64 exec, exec, s[52:53]
	s_cbranch_execz .LBB2_265
.LBB2_261:                              ;   Parent Loop BB2_49 Depth=1
                                        ; =>  This Inner Loop Header: Depth=2
	s_add_i32 s69, s69, 1
	s_cmpk_lg_i32 s69, 0x2710
	s_cselect_b64 s[58:59], -1, 0
	s_and_b64 vcc, exec, s[58:59]
                                        ; implicit-def: $sgpr60_sgpr61
	s_cbranch_vccnz .LBB2_263
; %bb.262:                              ;   in Loop: Header=BB2_261 Depth=2
	s_trap 2
	ds_read_b64 v[4:5], v0
	s_andn2_b64 s[58:59], s[58:59], exec
	s_mov_b32 s69, 0
	s_mov_b64 s[60:61], -1
	s_waitcnt lgkmcnt(0)
	flat_load_dword v1, v[4:5] glc
	s_waitcnt vmcnt(0) lgkmcnt(0)
	buffer_invl2
	buffer_wbinvl1_vol
	v_cmp_eq_u32_e32 vcc, 0, v1
	s_and_b64 vcc, vcc, exec
	s_or_b64 s[58:59], s[58:59], vcc
.LBB2_263:                              ;   in Loop: Header=BB2_261 Depth=2
	s_andn2_b64 s[56:57], s[56:57], exec
	s_and_b64 s[60:61], s[60:61], exec
	s_mov_b64 vcc, -1
	s_or_b64 s[56:57], s[56:57], s[60:61]
	s_and_saveexec_b64 s[60:61], s[58:59]
	s_cbranch_execz .LBB2_260
; %bb.264:                              ;   in Loop: Header=BB2_261 Depth=2
	s_sleep 1
	s_trap 2
	ds_read_b64 v[4:5], v0
	s_andn2_b64 s[56:57], s[56:57], exec
	s_waitcnt lgkmcnt(0)
	v_cmp_ge_u64_e32 vcc, v[4:5], v[38:39]
	s_orn2_b64 vcc, vcc, exec
	s_branch .LBB2_260
.LBB2_265:                              ;   in Loop: Header=BB2_49 Depth=1
	s_or_b64 exec, exec, s[52:53]
	s_and_saveexec_b64 vcc, s[54:55]
	s_xor_b64 vcc, exec, vcc
	s_cbranch_execz .LBB2_267
; %bb.266:                              ;   in Loop: Header=BB2_49 Depth=1
	ds_write_b32 v0, v25
	s_trap 2
.LBB2_267:                              ;   in Loop: Header=BB2_49 Depth=1
	s_or_b64 exec, exec, s[50:51]
	;;#ASMSTART
	s_wakeup
	;;#ASMEND
.LBB2_268:                              ;   in Loop: Header=BB2_49 Depth=1
	s_or_b64 exec, exec, s[48:49]
.LBB2_269:                              ;   in Loop: Header=BB2_49 Depth=1
	s_andn2_saveexec_b64 vcc, s[46:47]
	s_cbranch_execz .LBB2_271
; %bb.270:                              ;   in Loop: Header=BB2_49 Depth=1
	s_waitcnt vmcnt(0) lgkmcnt(0)
	buffer_wbinvl1_vol
	s_barrier
.LBB2_271:                              ;   in Loop: Header=BB2_49 Depth=1
	s_or_b64 exec, exec, vcc
.LBB2_272:                              ;   in Loop: Header=BB2_49 Depth=1
	s_or_b64 exec, exec, s[44:45]
	v_and_b32_e32 v1, 16, v54
	v_cmp_ne_u32_e32 vcc, 0, v1
	s_and_b64 vcc, vcc, s[22:23]
	s_and_saveexec_b64 s[22:23], vcc
	s_cbranch_execz .LBB2_274
; %bb.273:                              ;   in Loop: Header=BB2_49 Depth=1
	s_waitcnt vmcnt(0) lgkmcnt(0)
	buffer_wbinvl1_vol
.LBB2_274:                              ;   in Loop: Header=BB2_49 Depth=1
	s_or_b64 exec, exec, s[22:23]
	v_cmp_ne_u32_e32 vcc, 0, v1
	s_xor_b64 s[22:23], s[20:21], -1
	s_and_b64 vcc, vcc, s[22:23]
	s_and_saveexec_b64 s[22:23], vcc
	s_cbranch_execz .LBB2_276
; %bb.275:                              ;   in Loop: Header=BB2_49 Depth=1
	v_accvgpr_read_b32 v4, a16
	v_accvgpr_read_b32 v5, a17
	flat_store_dword v[4:5], v25
.LBB2_276:                              ;   in Loop: Header=BB2_49 Depth=1
	s_or_b64 exec, exec, s[22:23]
	v_and_b32_e32 v1, 48, v54
	v_cmp_ne_u32_e32 vcc, 0, v1
	s_and_saveexec_b64 s[22:23], vcc
	s_cbranch_execz .LBB2_278
; %bb.277:                              ;   in Loop: Header=BB2_49 Depth=1
	v_accvgpr_read_b32 v4, a10
	v_accvgpr_read_b32 v6, a12
	;; [unrolled: 1-line block ×3, first 2 shown]
	v_add_co_u32_e32 v6, vcc, 1, v6
	v_addc_co_u32_e32 v7, vcc, 0, v7, vcc
	v_accvgpr_read_b32 v5, a11
	v_accvgpr_write_b32 a13, v7
	v_accvgpr_write_b32 a12, v6
	;; [unrolled: 1-line block ×4, first 2 shown]
	flat_store_dwordx2 v[32:33], v[6:7]
.LBB2_278:                              ;   in Loop: Header=BB2_49 Depth=1
	s_or_b64 exec, exec, s[22:23]
	v_mov_b32_e32 v1, v28
.LBB2_279:                              ;   in Loop: Header=BB2_49 Depth=1
	s_or_b64 exec, exec, s[42:43]
	s_and_saveexec_b64 s[42:43], s[40:41]
	s_cbranch_execz .LBB2_48
; %bb.280:                              ;   in Loop: Header=BB2_49 Depth=1
	v_and_b32_e32 v3, 12, v54
	v_cmp_ne_u32_e32 vcc, 0, v3
	s_mov_b64 s[40:41], -1
	s_and_saveexec_b64 s[22:23], vcc
	s_cbranch_execz .LBB2_292
; %bb.281:                              ;   in Loop: Header=BB2_49 Depth=1
	v_and_b32_e32 v10, 8, v54
	v_add_co_u32_e32 v4, vcc, v36, v10
	v_accvgpr_read_b32 v6, a10
	v_addc_co_u32_e32 v5, vcc, 0, v37, vcc
	v_accvgpr_read_b32 v8, a12
	v_accvgpr_read_b32 v9, a13
	v_add_co_u32_e32 v12, vcc, 1, v8
	v_addc_co_u32_e32 v13, vcc, 0, v9, vcc
	v_cmp_lt_u64_e32 vcc, v[4:5], v[12:13]
	v_mov_b32_e32 v3, 1
	v_accvgpr_read_b32 v7, a11
	s_and_saveexec_b64 s[40:41], vcc
	s_cbranch_execz .LBB2_291
; %bb.282:                              ;   in Loop: Header=BB2_49 Depth=1
	s_mov_b64 s[44:45], 0
	v_mov_b32_e32 v3, 0
                                        ; implicit-def: $sgpr46_sgpr47
	s_branch .LBB2_286
.LBB2_283:                              ;   in Loop: Header=BB2_286 Depth=2
	s_or_b64 exec, exec, s[54:55]
	v_mov_b32_e32 v11, 0
	s_orn2_b64 s[52:53], s[52:53], exec
.LBB2_284:                              ;   in Loop: Header=BB2_286 Depth=2
	s_or_b64 exec, exec, s[50:51]
	s_andn2_b64 vcc, s[46:47], exec
	s_and_b64 s[46:47], s[52:53], exec
	s_or_b64 s[46:47], vcc, s[46:47]
	v_mov_b32_e32 v3, v11
.LBB2_285:                              ;   in Loop: Header=BB2_286 Depth=2
	s_or_b64 exec, exec, s[48:49]
	s_waitcnt vmcnt(0) lgkmcnt(0)
	v_add_co_u32_e32 v4, vcc, v36, v10
	v_addc_co_u32_e32 v5, vcc, 0, v37, vcc
	v_cmp_ge_u64_e32 vcc, v[4:5], v[12:13]
	s_xor_b64 s[48:49], s[46:47], -1
	s_or_b64 vcc, s[48:49], vcc
	s_and_b64 vcc, exec, vcc
	s_or_b64 s[44:45], vcc, s[44:45]
	s_andn2_b64 exec, exec, s[44:45]
	s_cbranch_execz .LBB2_290
.LBB2_286:                              ;   Parent Loop BB2_49 Depth=1
                                        ; =>  This Inner Loop Header: Depth=2
	s_sleep 1
	flat_load_dwordx2 v[36:37], v[32:33] glc
	v_and_b32_e32 v4, 64, v54
	v_cmp_eq_u32_e32 vcc, 0, v4
	s_andn2_b64 s[46:47], s[46:47], exec
	s_and_saveexec_b64 s[48:49], vcc
	s_cbranch_execz .LBB2_285
; %bb.287:                              ;   in Loop: Header=BB2_286 Depth=2
	v_add_u32_e32 v11, 1, v3
	v_cmp_lt_i32_e32 vcc, s64, v3
	s_mov_b64 s[52:53], -1
	s_and_saveexec_b64 s[50:51], vcc
	s_cbranch_execz .LBB2_284
; %bb.288:                              ;   in Loop: Header=BB2_286 Depth=2
	s_trap 2
	ds_read_b64 v[4:5], v0
	s_waitcnt vmcnt(0) lgkmcnt(0)
	flat_load_dword v3, v[4:5] glc
	s_waitcnt vmcnt(0) lgkmcnt(0)
	buffer_invl2
	buffer_wbinvl1_vol
	v_cmp_ne_u32_e32 vcc, 0, v3
	s_and_saveexec_b64 s[54:55], vcc
	s_cbranch_execz .LBB2_283
; %bb.289:                              ;   in Loop: Header=BB2_286 Depth=2
	v_or_b32_e32 v54, 64, v54
	s_xor_b64 s[52:53], exec, -1
	ds_write_b32 v0, v3
	s_trap 2
	s_branch .LBB2_283
.LBB2_290:                              ;   in Loop: Header=BB2_49 Depth=1
	s_or_b64 exec, exec, s[44:45]
	v_and_b32_e32 v3, 12, v54
.LBB2_291:                              ;   in Loop: Header=BB2_49 Depth=1
	s_or_b64 exec, exec, s[40:41]
	v_cmp_eq_u32_e32 vcc, 0, v3
	s_orn2_b64 s[40:41], vcc, exec
	;;#ASMSTART
	s_wakeup
	;;#ASMEND
.LBB2_292:                              ;   in Loop: Header=BB2_49 Depth=1
	s_or_b64 exec, exec, s[22:23]
	v_sub_u32_e32 v1, v46, v1
	s_xor_b64 s[22:23], s[40:41], -1
	v_min_i32_e32 v10, v28, v1
	s_and_saveexec_b64 s[40:41], s[22:23]
	s_cbranch_execz .LBB2_306
; %bb.293:                              ;   in Loop: Header=BB2_49 Depth=1
	v_accvgpr_read_b32 v4, a10
	v_and_b32_e32 v1, 0x108, v54
	v_accvgpr_read_b32 v6, a12
	v_cmp_ne_u32_e32 vcc, s65, v1
	v_and_b32_e32 v12, 7, v6
	v_accvgpr_read_b32 v5, a11
	v_accvgpr_read_b32 v7, a13
	s_and_saveexec_b64 s[22:23], vcc
	s_xor_b64 s[22:23], exec, s[22:23]
                                        ; implicit-def: $vgpr14_vgpr15
; %bb.294:                              ;   in Loop: Header=BB2_49 Depth=1
	v_mov_b32_e32 v15, v40
; %bb.295:                              ;   in Loop: Header=BB2_49 Depth=1
	s_andn2_saveexec_b64 s[22:23], s[22:23]
	s_cbranch_execz .LBB2_297
; %bb.296:                              ;   in Loop: Header=BB2_49 Depth=1
	v_accvgpr_read_b32 v4, a10
	v_accvgpr_read_b32 v5, a11
	;; [unrolled: 1-line block ×4, first 2 shown]
	v_ashrrev_i32_e32 v11, 31, v10
	v_mov_b32_e32 v15, v40
	v_mad_u64_u32 v[4:5], vcc, v12, 24, v[4:5]
	v_lshlrev_b64 v[6:7], 1, v[10:11]
	flat_store_dwordx2 v[4:5], v[6:7] offset:8
.LBB2_297:                              ;   in Loop: Header=BB2_49 Depth=1
	s_or_b64 exec, exec, s[22:23]
	v_and_b32_e32 v1, 0x100, v54
	v_cmp_ne_u32_e32 vcc, 0, v1
	s_mov_b64 s[22:23], -1
                                        ; implicit-def: $vgpr16_vgpr17
	s_and_saveexec_b64 s[44:45], vcc
	s_cbranch_execz .LBB2_301
; %bb.298:                              ;   in Loop: Header=BB2_49 Depth=1
	v_accvgpr_read_b32 v4, a10
	v_accvgpr_read_b32 v5, a11
	v_mad_u64_u32 v[18:19], s[22:23], v12, 24, v[4:5]
	v_mov_b32_e32 v4, v19
	v_mad_u64_u32 v[4:5], s[22:23], v15, 24, v[4:5]
	v_mov_b32_e32 v19, v4
	flat_load_dword v1, v[18:19]
	v_accvgpr_read_b32 v6, a12
	v_accvgpr_read_b32 v7, a13
                                        ; implicit-def: $vgpr16_vgpr17
	s_waitcnt vmcnt(0) lgkmcnt(0)
	v_cmp_ne_u32_e32 vcc, 1, v1
	v_cmp_eq_u32_e64 s[22:23], 1, v1
	s_and_saveexec_b64 s[46:47], s[22:23]
	s_cbranch_execz .LBB2_300
; %bb.299:                              ;   in Loop: Header=BB2_49 Depth=1
	flat_load_dword v4, v[18:19] offset:4 glc
	s_waitcnt vmcnt(0) lgkmcnt(0)
	v_ashrrev_i32_e32 v5, 31, v4
	v_lshrrev_b64 v[16:17], 1, v[4:5]
.LBB2_300:                              ;   in Loop: Header=BB2_49 Depth=1
	s_or_b64 exec, exec, s[46:47]
	s_orn2_b64 s[22:23], vcc, exec
.LBB2_301:                              ;   in Loop: Header=BB2_49 Depth=1
	s_or_b64 exec, exec, s[44:45]
	s_and_saveexec_b64 vcc, s[22:23]
; %bb.302:                              ;   in Loop: Header=BB2_49 Depth=1
	v_accvgpr_read_b32 v4, a14
	v_mul_lo_u32 v1, v15, v4
	v_mul_lo_u32 v3, v12, v57
	v_mad_u64_u32 v[16:17], s[22:23], v12, v4, 0
	v_add3_u32 v17, v17, v3, v1
; %bb.303:                              ;   in Loop: Header=BB2_49 Depth=1
	s_or_b64 exec, exec, vcc
	v_lshlrev_b64 v[4:5], 1, v[16:17]
	v_add_co_u32_e32 v4, vcc, v34, v4
	v_addc_co_u32_e32 v5, vcc, v35, v5, vcc
	v_and_b32_e32 v1, 0x2000, v54
	v_cmp_ne_u32_e32 vcc, 0, v1
	s_trap 2
	ds_write_b64 v0, v[4:5]
	s_and_saveexec_b64 s[22:23], vcc
	s_cbranch_execz .LBB2_305
; %bb.304:                              ;   in Loop: Header=BB2_49 Depth=1
	ds_read_b64 v[4:5], v0 offset:584
	s_waitcnt lgkmcnt(0)
	v_add_co_u32_e32 v4, vcc, 1, v4
	v_addc_co_u32_e32 v5, vcc, 0, v5, vcc
	ds_write_b64 v0, v[4:5] offset:584
.LBB2_305:                              ;   in Loop: Header=BB2_49 Depth=1
	s_or_b64 exec, exec, s[22:23]
	v_accvgpr_read_b32 v4, a10
	v_accvgpr_read_b32 v6, a12
	;; [unrolled: 1-line block ×3, first 2 shown]
	v_add_co_u32_e32 v6, vcc, 1, v6
	v_addc_co_u32_e32 v7, vcc, 0, v7, vcc
	v_accvgpr_read_b32 v5, a11
	v_accvgpr_write_b32 a13, v7
	v_accvgpr_write_b32 a12, v6
	;; [unrolled: 1-line block ×4, first 2 shown]
.LBB2_306:                              ;   in Loop: Header=BB2_49 Depth=1
	s_or_b64 exec, exec, s[40:41]
	s_and_saveexec_b64 s[22:23], s[12:13]
	s_cbranch_execz .LBB2_325
; %bb.307:                              ;   in Loop: Header=BB2_49 Depth=1
	s_and_saveexec_b64 vcc, s[34:35]
	s_xor_b64 s[40:41], exec, vcc
	s_cbranch_execz .LBB2_322
; %bb.308:                              ;   in Loop: Header=BB2_49 Depth=1
	s_and_saveexec_b64 s[44:45], s[14:15]
	s_cbranch_execz .LBB2_321
; %bb.309:                              ;   in Loop: Header=BB2_49 Depth=1
	s_mov_b64 s[48:49], exec
	v_mbcnt_lo_u32_b32 v1, s48, 0
	v_mbcnt_hi_u32_b32 v1, s49, v1
	v_cmp_eq_u32_e32 vcc, 0, v1
	s_waitcnt vmcnt(0) lgkmcnt(0)
	buffer_wbinvl1_vol
	s_and_saveexec_b64 s[46:47], vcc
	s_cbranch_execz .LBB2_311
; %bb.310:                              ;   in Loop: Header=BB2_49 Depth=1
	s_bcnt1_i32_b64 vcc_lo, s[48:49]
	v_mov_b32_e32 v4, vcc_lo
	v_mov_b32_e32 v5, v40
	ds_add_u64 v0, v[4:5]
	s_trap 2
.LBB2_311:                              ;   in Loop: Header=BB2_49 Depth=1
	s_or_b64 exec, exec, s[46:47]
	s_trap 2
	ds_read_b64 v[4:5], v0
	v_add_co_u32_e32 v38, vcc, v38, v30
	v_addc_co_u32_e32 v39, vcc, 0, v39, vcc
	s_waitcnt lgkmcnt(0)
	v_cmp_lt_u64_e32 vcc, v[4:5], v[38:39]
	s_and_saveexec_b64 s[46:47], vcc
	s_cbranch_execz .LBB2_320
; %bb.312:                              ;   in Loop: Header=BB2_49 Depth=1
	s_mov_b32 s58, 0
	s_mov_b64 s[48:49], 0
                                        ; implicit-def: $sgpr50_sgpr51
                                        ; implicit-def: $sgpr52_sgpr53
	s_branch .LBB2_314
.LBB2_313:                              ;   in Loop: Header=BB2_314 Depth=2
	s_or_b64 exec, exec, s[56:57]
	s_and_b64 vcc, exec, vcc
	s_or_b64 s[48:49], vcc, s[48:49]
	s_andn2_b64 vcc, s[50:51], exec
	s_and_b64 s[50:51], s[52:53], exec
	s_or_b64 s[50:51], vcc, s[50:51]
	s_andn2_b64 exec, exec, s[48:49]
	s_cbranch_execz .LBB2_318
.LBB2_314:                              ;   Parent Loop BB2_49 Depth=1
                                        ; =>  This Inner Loop Header: Depth=2
	s_add_i32 s58, s58, 1
	s_cmpk_lg_i32 s58, 0x2710
	s_cselect_b64 s[54:55], -1, 0
	s_and_b64 vcc, exec, s[54:55]
                                        ; implicit-def: $sgpr56_sgpr57
	s_cbranch_vccnz .LBB2_316
; %bb.315:                              ;   in Loop: Header=BB2_314 Depth=2
	s_trap 2
	ds_read_b64 v[4:5], v0
	s_andn2_b64 s[54:55], s[54:55], exec
	s_mov_b32 s58, 0
	s_mov_b64 s[56:57], -1
	s_waitcnt lgkmcnt(0)
	flat_load_dword v1, v[4:5] glc
	s_waitcnt vmcnt(0) lgkmcnt(0)
	buffer_invl2
	buffer_wbinvl1_vol
	v_cmp_eq_u32_e32 vcc, 0, v1
	s_and_b64 vcc, vcc, exec
	s_or_b64 s[54:55], s[54:55], vcc
.LBB2_316:                              ;   in Loop: Header=BB2_314 Depth=2
	s_andn2_b64 s[52:53], s[52:53], exec
	s_and_b64 s[56:57], s[56:57], exec
	s_mov_b64 vcc, -1
	s_or_b64 s[52:53], s[52:53], s[56:57]
	s_and_saveexec_b64 s[56:57], s[54:55]
	s_cbranch_execz .LBB2_313
; %bb.317:                              ;   in Loop: Header=BB2_314 Depth=2
	s_sleep 1
	s_trap 2
	ds_read_b64 v[4:5], v0
	s_andn2_b64 s[52:53], s[52:53], exec
	s_waitcnt lgkmcnt(0)
	v_cmp_ge_u64_e32 vcc, v[4:5], v[38:39]
	s_orn2_b64 vcc, vcc, exec
	s_branch .LBB2_313
.LBB2_318:                              ;   in Loop: Header=BB2_49 Depth=1
	s_or_b64 exec, exec, s[48:49]
	s_and_saveexec_b64 vcc, s[50:51]
	s_xor_b64 vcc, exec, vcc
	s_cbranch_execz .LBB2_320
; %bb.319:                              ;   in Loop: Header=BB2_49 Depth=1
	ds_write_b32 v0, v25
	s_trap 2
.LBB2_320:                              ;   in Loop: Header=BB2_49 Depth=1
	s_or_b64 exec, exec, s[46:47]
	;;#ASMSTART
	s_wakeup
	;;#ASMEND
.LBB2_321:                              ;   in Loop: Header=BB2_49 Depth=1
	s_or_b64 exec, exec, s[44:45]
.LBB2_322:                              ;   in Loop: Header=BB2_49 Depth=1
	s_andn2_saveexec_b64 vcc, s[40:41]
	s_cbranch_execz .LBB2_324
; %bb.323:                              ;   in Loop: Header=BB2_49 Depth=1
	s_waitcnt vmcnt(0) lgkmcnt(0)
	buffer_wbinvl1_vol
	s_barrier
.LBB2_324:                              ;   in Loop: Header=BB2_49 Depth=1
	s_or_b64 exec, exec, vcc
.LBB2_325:                              ;   in Loop: Header=BB2_49 Depth=1
	s_or_b64 exec, exec, s[22:23]
	s_trap 2
	ds_read_b32 v3, v0
	v_cmp_lt_i32_e32 vcc, 0, v10
	v_and_b32_e32 v1, 16, v54
	s_waitcnt lgkmcnt(0)
	v_readfirstlane_b32 s22, v3
	s_cmp_eq_u32 s22, 0
	s_cselect_b64 s[22:23], -1, 0
	s_and_b64 s[22:23], vcc, s[22:23]
	v_cmp_ne_u32_e32 vcc, 0, v1
	s_and_b64 vcc, vcc, s[22:23]
	s_and_saveexec_b64 s[22:23], vcc
	s_cbranch_execz .LBB2_327
; %bb.326:                              ;   in Loop: Header=BB2_49 Depth=1
	s_waitcnt vmcnt(0)
	buffer_wbinvl1_vol
.LBB2_327:                              ;   in Loop: Header=BB2_49 Depth=1
	s_or_b64 exec, exec, s[22:23]
	v_cmp_ne_u32_e32 vcc, 0, v1
	s_xor_b64 s[22:23], s[20:21], -1
	s_and_b64 vcc, vcc, s[22:23]
	s_and_saveexec_b64 s[22:23], vcc
	s_cbranch_execz .LBB2_329
; %bb.328:                              ;   in Loop: Header=BB2_49 Depth=1
	v_accvgpr_read_b32 v4, a16
	v_accvgpr_read_b32 v5, a17
	flat_store_dword v[4:5], v25
.LBB2_329:                              ;   in Loop: Header=BB2_49 Depth=1
	s_or_b64 exec, exec, s[22:23]
	v_and_b32_e32 v1, 48, v54
	v_cmp_ne_u32_e32 vcc, 0, v1
	s_and_saveexec_b64 s[22:23], vcc
	s_cbranch_execz .LBB2_47
; %bb.330:                              ;   in Loop: Header=BB2_49 Depth=1
	v_accvgpr_read_b32 v4, a10
	v_accvgpr_read_b32 v6, a12
	;; [unrolled: 1-line block ×3, first 2 shown]
	v_add_co_u32_e32 v6, vcc, 1, v6
	v_addc_co_u32_e32 v7, vcc, 0, v7, vcc
	v_accvgpr_read_b32 v5, a11
	v_accvgpr_write_b32 a13, v7
	v_accvgpr_write_b32 a12, v6
	;; [unrolled: 1-line block ×4, first 2 shown]
	flat_store_dwordx2 v[32:33], v[6:7]
	s_branch .LBB2_47
.LBB2_331:
	s_or_b64 exec, exec, s[36:37]
	v_accvgpr_read_b32 v6, a10
	v_accvgpr_read_b32 v56, a0
	;; [unrolled: 1-line block ×7, first 2 shown]
.LBB2_332:
	s_or_b64 exec, exec, s[30:31]
                                        ; implicit-def: $vgpr52_vgpr53
                                        ; implicit-def: $vgpr44_vgpr45
                                        ; implicit-def: $agpr14
                                        ; implicit-def: $vgpr36_vgpr37
                                        ; implicit-def: $vgpr34_vgpr35
                                        ; implicit-def: $vgpr32_vgpr33
                                        ; implicit-def: $vgpr0
                                        ; implicit-def: $vgpr15
                                        ; implicit-def: $vgpr48_vgpr49
.LBB2_333:
	s_andn2_saveexec_b64 s[20:21], s[28:29]
	s_cbranch_execz .LBB2_610
; %bb.334:
	v_pk_mov_b32 v[38:39], 0, 0
	s_and_saveexec_b64 s[22:23], s[6:7]
	s_cbranch_execz .LBB2_609
; %bb.335:
	v_and_b32_e32 v1, 63, v31
	v_cmp_eq_u32_e64 s[12:13], 0, v1
	v_ashrrev_i32_e32 v1, 31, v0
	v_lshrrev_b32_e32 v1, 26, v1
	v_add_u32_e32 v1, v0, v1
	v_ashrrev_i32_e32 v57, 6, v1
	v_and_b32_e32 v1, 0xffffffc0, v1
	v_sub_u32_e32 v2, v0, v1
	v_lshlrev_b32_e32 v1, 11, v57
	v_cmp_le_i32_e64 s[14:15], v2, v15
	v_cmp_gt_i32_e64 s[16:17], 1, v2
	v_accvgpr_write_b32 a15, v2
	v_lshl_add_u32 v2, v2, 4, v1
	v_ashrrev_i32_e32 v1, 31, v2
	v_lshrrev_b32_e32 v30, 6, v56
	s_waitcnt vmcnt(0) lgkmcnt(0)
	v_accvgpr_write_b32 a17, v1
	v_mov_b32_e32 v1, 0xfffff800
	v_lshl_add_u32 v1, v30, 11, v1
	s_movk_i32 s18, 0x800
	v_accvgpr_write_b32 a16, v2
	v_ashrrev_i32_e32 v2, 31, v1
	v_add_co_u32_e64 v27, s[18:19], s18, v1
	v_accvgpr_write_b32 a1, v31
	v_addc_co_u32_e64 v31, s[18:19], 0, v2, s[18:19]
	v_lshlrev_b32_e32 v1, 10, v30
	v_accvgpr_write_b32 a18, v1
	v_add_u32_e32 v1, 0xfffffc00, v1
	s_movk_i32 s18, 0x400
	v_ashrrev_i32_e32 v2, 31, v1
	v_add_co_u32_e64 v62, s[18:19], s18, v1
	v_addc_co_u32_e64 v26, s[18:19], 0, v2, s[18:19]
	v_mov_b32_e32 v1, 0xffffff00
	v_lshl_add_u32 v1, v30, 8, v1
	s_movk_i32 s18, 0x100
	v_accvgpr_write_b32 a8, v60
	v_ashrrev_i32_e32 v2, 31, v1
	v_add_co_u32_e64 v55, s[18:19], s18, v1
	v_accvgpr_write_b32 a9, v61
	v_addc_co_u32_e64 v60, s[18:19], 0, v2, s[18:19]
	v_lshlrev_b32_e32 v25, 7, v30
	s_lshr_b32 s6, s62, 27
	v_add_u32_e32 v1, 0xffffff80, v25
	s_movk_i32 s18, 0x80
	v_accvgpr_write_b32 a13, v9
	s_add_i32 s6, s62, s6
	v_cmp_eq_u32_e32 vcc, 64, v56
	v_ashrrev_i32_e32 v2, 31, v1
	v_add_co_u32_e64 v61, s[18:19], s18, v1
	v_pk_mov_b32 v[40:41], 0, 0
	v_accvgpr_write_b32 a4, v44
	v_accvgpr_write_b32 a12, v8
	;; [unrolled: 1-line block ×4, first 2 shown]
	s_ashr_i32 s58, s6, 5
	v_cmp_ge_i32_e64 s[6:7], v0, v56
	v_cmp_ne_u32_e64 s[10:11], 64, v56
	v_accvgpr_write_b32 a2, v58
	v_cmp_ne_u32_sdwa s[28:29], v58, v56 src0_sel:WORD_0 src1_sel:DWORD
	v_accvgpr_write_b32 a0, v56
	v_mov_b32_e32 v51, 0
	v_addc_co_u32_e64 v2, s[18:19], 0, v2, s[18:19]
	s_mov_b64 s[30:31], 0
	s_movk_i32 s59, 0x270e
	s_xor_b64 s[34:35], vcc, -1
	s_mov_b32 s60, 0x7f800000
	s_movk_i32 s61, 0x7fff
	s_mov_b32 s63, 0xffff0000
	v_pk_mov_b32 v[38:39], v[40:41], v[40:41] op_sel:[0,1]
	v_accvgpr_write_b32 a5, v45
	v_accvgpr_write_b32 a19, v25
	s_trap 2
	s_branch .LBB2_338
.LBB2_336:                              ;   in Loop: Header=BB2_338 Depth=1
	s_or_b64 exec, exec, s[18:19]
.LBB2_337:                              ;   in Loop: Header=BB2_338 Depth=1
	s_or_b64 exec, exec, s[38:39]
	v_add_co_u32_e32 v40, vcc, v40, v48
	v_addc_co_u32_e32 v41, vcc, 0, v41, vcc
	v_cmp_ge_u64_e32 vcc, v[40:41], v[44:45]
	s_or_b64 s[30:31], vcc, s[30:31]
	s_andn2_b64 exec, exec, s[30:31]
	s_cbranch_execz .LBB2_608
.LBB2_338:                              ; =>This Loop Header: Depth=1
                                        ;     Child Loop BB2_349 Depth 2
                                        ;     Child Loop BB2_371 Depth 2
	;; [unrolled: 1-line block ×10, first 2 shown]
	v_sub_co_u32_e32 v4, vcc, v44, v40
	v_subb_co_u32_e32 v5, vcc, v45, v41, vcc
	v_cmp_lt_u64_e32 vcc, v[48:49], v[4:5]
	v_cndmask_b32_e64 v43, v5, 0, vcc
	v_cndmask_b32_e32 v42, v4, v48, vcc
	v_add_u32_e32 v1, 15, v42
	v_cmp_eq_u64_e32 vcc, 0, v[42:43]
	v_and_b32_e32 v1, 0x3ffffff0, v1
	s_or_b64 s[36:37], s[6:7], vcc
	v_max_i32_e32 v28, s58, v1
	s_xor_b64 s[18:19], s[36:37], -1
	v_mov_b32_e32 v1, 0
	s_and_saveexec_b64 s[38:39], s[18:19]
	s_cbranch_execz .LBB2_562
; %bb.339:                              ;   in Loop: Header=BB2_338 Depth=1
	s_and_saveexec_b64 s[18:19], s[4:5]
	s_cbranch_execz .LBB2_341
; %bb.340:                              ;   in Loop: Header=BB2_338 Depth=1
	s_trap 2
	ds_read2_b64 v[10:13], v0 offset1:1
	ds_read_b64 v[6:7], v0
	v_add_co_u32_e32 v4, vcc, v40, v52
	v_addc_co_u32_e32 v5, vcc, v41, v53, vcc
	v_lshlrev_b64 v[4:5], 1, v[4:5]
	s_waitcnt lgkmcnt(0)
	v_add_co_u32_e32 v8, vcc, v10, v4
	v_addc_co_u32_e32 v9, vcc, v11, v5, vcc
	ds_write_b64 v0, v[8:9]
	v_add_co_u32_e32 v8, vcc, v12, v4
	v_addc_co_u32_e32 v9, vcc, v13, v5, vcc
	s_waitcnt lgkmcnt(1)
	v_add_co_u32_e32 v1, vcc, v6, v4
	v_addc_co_u32_e32 v3, vcc, v7, v5, vcc
	v_cmp_ne_u64_e32 vcc, 0, v[6:7]
	v_cndmask_b32_e32 v5, 0, v3, vcc
	v_cndmask_b32_e32 v4, 0, v1, vcc
	ds_write_b64 v0, v[8:9]
	ds_write_b64 v0, v[4:5]
.LBB2_341:                              ;   in Loop: Header=BB2_338 Depth=1
	s_or_b64 exec, exec, s[18:19]
	v_and_b32_e32 v1, 4, v54
	v_cmp_ne_u32_e32 vcc, 0, v1
	s_mov_b64 s[40:41], -1
	s_and_saveexec_b64 s[18:19], vcc
	s_cbranch_execnz .LBB2_344
; %bb.342:                              ;   in Loop: Header=BB2_338 Depth=1
	s_or_b64 exec, exec, s[18:19]
	s_xor_b64 s[18:19], s[40:41], -1
	s_and_saveexec_b64 s[40:41], s[18:19]
	s_cbranch_execnz .LBB2_355
.LBB2_343:                              ;   in Loop: Header=BB2_338 Depth=1
	s_or_b64 exec, exec, s[40:41]
	s_and_saveexec_b64 s[18:19], s[10:11]
	s_cbranch_execnz .LBB2_364
	s_branch .LBB2_382
.LBB2_344:                              ;   in Loop: Header=BB2_338 Depth=1
	v_accvgpr_read_b32 v4, a10
	v_accvgpr_read_b32 v6, a12
	;; [unrolled: 1-line block ×3, first 2 shown]
	v_add_co_u32_e32 v10, vcc, 1, v6
	v_addc_co_u32_e32 v11, vcc, 0, v7, vcc
	v_cmp_lt_u64_e32 vcc, v[36:37], v[10:11]
	v_mov_b32_e32 v1, 1
	v_accvgpr_read_b32 v5, a11
	s_and_saveexec_b64 s[40:41], vcc
	s_cbranch_execz .LBB2_354
; %bb.345:                              ;   in Loop: Header=BB2_338 Depth=1
	s_mov_b64 s[42:43], 0
	v_mov_b32_e32 v1, 0
                                        ; implicit-def: $sgpr44_sgpr45
	s_branch .LBB2_349
.LBB2_346:                              ;   in Loop: Header=BB2_349 Depth=2
	s_or_b64 exec, exec, s[52:53]
	v_mov_b32_e32 v3, 0
	s_orn2_b64 s[50:51], s[50:51], exec
.LBB2_347:                              ;   in Loop: Header=BB2_349 Depth=2
	s_or_b64 exec, exec, s[48:49]
	s_andn2_b64 vcc, s[44:45], exec
	s_and_b64 s[44:45], s[50:51], exec
	s_or_b64 s[44:45], vcc, s[44:45]
	v_mov_b32_e32 v1, v3
.LBB2_348:                              ;   in Loop: Header=BB2_349 Depth=2
	s_or_b64 exec, exec, s[46:47]
	s_waitcnt vmcnt(0) lgkmcnt(0)
	v_cmp_ge_u64_e32 vcc, v[36:37], v[10:11]
	s_xor_b64 s[46:47], s[44:45], -1
	s_or_b64 vcc, s[46:47], vcc
	s_and_b64 vcc, exec, vcc
	s_or_b64 s[42:43], vcc, s[42:43]
	s_andn2_b64 exec, exec, s[42:43]
	s_cbranch_execz .LBB2_353
.LBB2_349:                              ;   Parent Loop BB2_338 Depth=1
                                        ; =>  This Inner Loop Header: Depth=2
	s_sleep 1
	flat_load_dwordx2 v[36:37], v[32:33] glc
	v_and_b32_e32 v3, 64, v54
	v_cmp_eq_u32_e32 vcc, 0, v3
	s_andn2_b64 s[44:45], s[44:45], exec
	s_and_saveexec_b64 s[46:47], vcc
	s_cbranch_execz .LBB2_348
; %bb.350:                              ;   in Loop: Header=BB2_349 Depth=2
	v_add_u32_e32 v3, 1, v1
	v_cmp_lt_i32_e32 vcc, s59, v1
	s_mov_b64 s[50:51], -1
	s_and_saveexec_b64 s[48:49], vcc
	s_cbranch_execz .LBB2_347
; %bb.351:                              ;   in Loop: Header=BB2_349 Depth=2
	s_trap 2
	ds_read_b64 v[4:5], v0
	s_waitcnt vmcnt(0) lgkmcnt(0)
	flat_load_dword v1, v[4:5] glc
	s_waitcnt vmcnt(0) lgkmcnt(0)
	buffer_invl2
	buffer_wbinvl1_vol
	v_cmp_ne_u32_e32 vcc, 0, v1
	s_and_saveexec_b64 s[52:53], vcc
	s_cbranch_execz .LBB2_346
; %bb.352:                              ;   in Loop: Header=BB2_349 Depth=2
	v_or_b32_e32 v54, 64, v54
	s_xor_b64 s[50:51], exec, -1
	ds_write_b32 v0, v1
	s_trap 2
	s_branch .LBB2_346
.LBB2_353:                              ;   in Loop: Header=BB2_338 Depth=1
	s_or_b64 exec, exec, s[42:43]
	v_and_b32_e32 v1, 4, v54
.LBB2_354:                              ;   in Loop: Header=BB2_338 Depth=1
	s_or_b64 exec, exec, s[40:41]
	v_cmp_eq_u32_e32 vcc, 0, v1
	s_orn2_b64 s[40:41], vcc, exec
	;;#ASMSTART
	s_wakeup
	;;#ASMEND
	s_or_b64 exec, exec, s[18:19]
	s_xor_b64 s[18:19], s[40:41], -1
	s_and_saveexec_b64 s[40:41], s[18:19]
	s_cbranch_execz .LBB2_343
.LBB2_355:                              ;   in Loop: Header=BB2_338 Depth=1
	v_accvgpr_read_b32 v4, a10
	v_and_b32_e32 v1, 0x100, v54
	v_accvgpr_read_b32 v6, a12
	v_cmp_ne_u32_e32 vcc, 0, v1
	v_and_b32_e32 v1, 7, v6
	s_mov_b64 s[18:19], -1
	v_accvgpr_read_b32 v5, a11
	v_accvgpr_read_b32 v7, a13
                                        ; implicit-def: $vgpr10_vgpr11
	s_and_saveexec_b64 s[42:43], vcc
	s_cbranch_execz .LBB2_359
; %bb.356:                              ;   in Loop: Header=BB2_338 Depth=1
	v_accvgpr_read_b32 v4, a10
	v_accvgpr_read_b32 v5, a11
	v_mad_u64_u32 v[12:13], s[18:19], v1, 24, v[4:5]
	flat_load_dword v3, v[12:13]
	v_accvgpr_read_b32 v6, a12
	v_accvgpr_read_b32 v7, a13
                                        ; implicit-def: $vgpr10_vgpr11
	s_waitcnt vmcnt(0) lgkmcnt(0)
	v_cmp_ne_u32_e32 vcc, 1, v3
	v_cmp_eq_u32_e64 s[18:19], 1, v3
	s_and_saveexec_b64 s[44:45], s[18:19]
	s_cbranch_execz .LBB2_358
; %bb.357:                              ;   in Loop: Header=BB2_338 Depth=1
	flat_load_dword v4, v[12:13] offset:4 glc
	s_waitcnt vmcnt(0) lgkmcnt(0)
	v_ashrrev_i32_e32 v5, 31, v4
	v_lshrrev_b64 v[10:11], 1, v[4:5]
.LBB2_358:                              ;   in Loop: Header=BB2_338 Depth=1
	s_or_b64 exec, exec, s[44:45]
	s_orn2_b64 s[18:19], vcc, exec
.LBB2_359:                              ;   in Loop: Header=BB2_338 Depth=1
	s_or_b64 exec, exec, s[42:43]
	s_and_saveexec_b64 vcc, s[18:19]
; %bb.360:                              ;   in Loop: Header=BB2_338 Depth=1
	v_accvgpr_read_b32 v4, a14
	v_mad_i64_i32 v[10:11], s[18:19], v1, v4, 0
; %bb.361:                              ;   in Loop: Header=BB2_338 Depth=1
	s_or_b64 exec, exec, vcc
	v_lshlrev_b64 v[4:5], 1, v[10:11]
	v_add_co_u32_e32 v4, vcc, v34, v4
	v_addc_co_u32_e32 v5, vcc, v35, v5, vcc
	v_and_b32_e32 v1, 0x2000, v54
	v_cmp_ne_u32_e32 vcc, 0, v1
	ds_write_b64 v0, v[4:5] offset:728
	s_and_saveexec_b64 s[18:19], vcc
	s_cbranch_execz .LBB2_363
; %bb.362:                              ;   in Loop: Header=BB2_338 Depth=1
	ds_read_b64 v[4:5], v0 offset:584
	s_waitcnt lgkmcnt(0)
	v_add_co_u32_e32 v4, vcc, 1, v4
	v_addc_co_u32_e32 v5, vcc, 0, v5, vcc
	ds_write_b64 v0, v[4:5] offset:584
.LBB2_363:                              ;   in Loop: Header=BB2_338 Depth=1
	s_or_b64 exec, exec, s[18:19]
	v_accvgpr_read_b32 v4, a10
	v_accvgpr_read_b32 v6, a12
	;; [unrolled: 1-line block ×3, first 2 shown]
	v_add_co_u32_e32 v6, vcc, 1, v6
	v_addc_co_u32_e32 v7, vcc, 0, v7, vcc
	v_accvgpr_read_b32 v5, a11
	v_accvgpr_write_b32 a13, v7
	v_accvgpr_write_b32 a12, v6
	;; [unrolled: 1-line block ×4, first 2 shown]
	s_or_b64 exec, exec, s[40:41]
	s_and_saveexec_b64 s[18:19], s[10:11]
	s_cbranch_execz .LBB2_382
.LBB2_364:                              ;   in Loop: Header=BB2_338 Depth=1
	s_and_saveexec_b64 vcc, s[28:29]
	s_xor_b64 s[40:41], exec, vcc
	s_cbranch_execz .LBB2_379
; %bb.365:                              ;   in Loop: Header=BB2_338 Depth=1
	s_and_saveexec_b64 s[42:43], s[12:13]
	s_cbranch_execz .LBB2_378
; %bb.366:                              ;   in Loop: Header=BB2_338 Depth=1
	s_mov_b64 s[46:47], exec
	v_mbcnt_lo_u32_b32 v1, s46, 0
	v_mbcnt_hi_u32_b32 v1, s47, v1
	v_cmp_eq_u32_e32 vcc, 0, v1
	s_waitcnt vmcnt(0) lgkmcnt(0)
	buffer_wbinvl1_vol
	s_and_saveexec_b64 s[44:45], vcc
	s_cbranch_execz .LBB2_368
; %bb.367:                              ;   in Loop: Header=BB2_338 Depth=1
	s_bcnt1_i32_b64 vcc_lo, s[46:47]
	v_mov_b32_e32 v50, vcc_lo
	ds_add_u64 v0, v[50:51]
	s_trap 2
.LBB2_368:                              ;   in Loop: Header=BB2_338 Depth=1
	s_or_b64 exec, exec, s[44:45]
	s_trap 2
	ds_read_b64 v[4:5], v0
	v_add_co_u32_e32 v38, vcc, v38, v30
	v_addc_co_u32_e32 v39, vcc, 0, v39, vcc
	s_waitcnt lgkmcnt(0)
	v_cmp_lt_u64_e32 vcc, v[4:5], v[38:39]
	s_and_saveexec_b64 s[44:45], vcc
	s_cbranch_execz .LBB2_377
; %bb.369:                              ;   in Loop: Header=BB2_338 Depth=1
	s_mov_b32 s56, 0
	s_mov_b64 s[46:47], 0
                                        ; implicit-def: $sgpr48_sgpr49
                                        ; implicit-def: $sgpr50_sgpr51
	s_branch .LBB2_371
.LBB2_370:                              ;   in Loop: Header=BB2_371 Depth=2
	s_or_b64 exec, exec, s[54:55]
	s_and_b64 vcc, exec, vcc
	s_or_b64 s[46:47], vcc, s[46:47]
	s_andn2_b64 vcc, s[48:49], exec
	s_and_b64 s[48:49], s[50:51], exec
	s_or_b64 s[48:49], vcc, s[48:49]
	s_andn2_b64 exec, exec, s[46:47]
	s_cbranch_execz .LBB2_375
.LBB2_371:                              ;   Parent Loop BB2_338 Depth=1
                                        ; =>  This Inner Loop Header: Depth=2
	s_add_i32 s56, s56, 1
	s_cmpk_lg_i32 s56, 0x2710
	s_cselect_b64 s[52:53], -1, 0
	s_and_b64 vcc, exec, s[52:53]
                                        ; implicit-def: $sgpr54_sgpr55
	s_cbranch_vccnz .LBB2_373
; %bb.372:                              ;   in Loop: Header=BB2_371 Depth=2
	s_trap 2
	ds_read_b64 v[4:5], v0
	s_andn2_b64 s[52:53], s[52:53], exec
	s_mov_b32 s56, 0
	s_mov_b64 s[54:55], -1
	s_waitcnt lgkmcnt(0)
	flat_load_dword v1, v[4:5] glc
	s_waitcnt vmcnt(0) lgkmcnt(0)
	buffer_invl2
	buffer_wbinvl1_vol
	v_cmp_eq_u32_e32 vcc, 0, v1
	s_and_b64 vcc, vcc, exec
	s_or_b64 s[52:53], s[52:53], vcc
.LBB2_373:                              ;   in Loop: Header=BB2_371 Depth=2
	s_andn2_b64 s[50:51], s[50:51], exec
	s_and_b64 s[54:55], s[54:55], exec
	s_mov_b64 vcc, -1
	s_or_b64 s[50:51], s[50:51], s[54:55]
	s_and_saveexec_b64 s[54:55], s[52:53]
	s_cbranch_execz .LBB2_370
; %bb.374:                              ;   in Loop: Header=BB2_371 Depth=2
	s_sleep 1
	s_trap 2
	ds_read_b64 v[4:5], v0
	s_andn2_b64 s[50:51], s[50:51], exec
	s_waitcnt lgkmcnt(0)
	v_cmp_ge_u64_e32 vcc, v[4:5], v[38:39]
	s_orn2_b64 vcc, vcc, exec
	s_branch .LBB2_370
.LBB2_375:                              ;   in Loop: Header=BB2_338 Depth=1
	s_or_b64 exec, exec, s[46:47]
	s_and_saveexec_b64 vcc, s[48:49]
	s_xor_b64 vcc, exec, vcc
	s_cbranch_execz .LBB2_377
; %bb.376:                              ;   in Loop: Header=BB2_338 Depth=1
	v_mov_b32_e32 v1, 1
	ds_write_b32 v0, v1
	s_trap 2
.LBB2_377:                              ;   in Loop: Header=BB2_338 Depth=1
	s_or_b64 exec, exec, s[44:45]
	;;#ASMSTART
	s_wakeup
	;;#ASMEND
.LBB2_378:                              ;   in Loop: Header=BB2_338 Depth=1
	s_or_b64 exec, exec, s[42:43]
.LBB2_379:                              ;   in Loop: Header=BB2_338 Depth=1
	s_andn2_saveexec_b64 vcc, s[40:41]
	s_cbranch_execz .LBB2_381
; %bb.380:                              ;   in Loop: Header=BB2_338 Depth=1
	s_waitcnt vmcnt(0) lgkmcnt(0)
	buffer_wbinvl1_vol
	s_barrier
.LBB2_381:                              ;   in Loop: Header=BB2_338 Depth=1
	s_or_b64 exec, exec, vcc
.LBB2_382:                              ;   in Loop: Header=BB2_338 Depth=1
	s_or_b64 exec, exec, s[18:19]
	s_trap 2
	ds_read_b32 v1, v0
	v_and_b32_e32 v3, 0x4000, v54
	v_cmp_ne_u32_e32 vcc, 0, v3
	s_and_b64 vcc, s[34:35], vcc
	s_and_saveexec_b64 s[18:19], vcc
	s_cbranch_execz .LBB2_401
; %bb.383:                              ;   in Loop: Header=BB2_338 Depth=1
	s_and_saveexec_b64 vcc, s[28:29]
	s_xor_b64 s[40:41], exec, vcc
	s_cbranch_execz .LBB2_398
; %bb.384:                              ;   in Loop: Header=BB2_338 Depth=1
	s_and_saveexec_b64 s[42:43], s[12:13]
	s_cbranch_execz .LBB2_397
; %bb.385:                              ;   in Loop: Header=BB2_338 Depth=1
	s_mov_b64 s[46:47], exec
	v_mbcnt_lo_u32_b32 v3, s46, 0
	v_mbcnt_hi_u32_b32 v3, s47, v3
	v_cmp_eq_u32_e32 vcc, 0, v3
	s_waitcnt vmcnt(0) lgkmcnt(0)
	buffer_wbinvl1_vol
	s_and_saveexec_b64 s[44:45], vcc
	s_cbranch_execz .LBB2_387
; %bb.386:                              ;   in Loop: Header=BB2_338 Depth=1
	s_bcnt1_i32_b64 vcc_lo, s[46:47]
	v_mov_b32_e32 v50, vcc_lo
	ds_add_u64 v0, v[50:51]
	s_trap 2
.LBB2_387:                              ;   in Loop: Header=BB2_338 Depth=1
	s_or_b64 exec, exec, s[44:45]
	s_trap 2
	ds_read_b64 v[4:5], v0
	v_add_co_u32_e32 v38, vcc, v38, v30
	v_addc_co_u32_e32 v39, vcc, 0, v39, vcc
	s_waitcnt lgkmcnt(0)
	v_cmp_lt_u64_e32 vcc, v[4:5], v[38:39]
	s_and_saveexec_b64 s[44:45], vcc
	s_cbranch_execz .LBB2_396
; %bb.388:                              ;   in Loop: Header=BB2_338 Depth=1
	s_mov_b32 s56, 0
	s_mov_b64 s[46:47], 0
                                        ; implicit-def: $sgpr48_sgpr49
                                        ; implicit-def: $sgpr50_sgpr51
	s_branch .LBB2_390
.LBB2_389:                              ;   in Loop: Header=BB2_390 Depth=2
	s_or_b64 exec, exec, s[54:55]
	s_and_b64 vcc, exec, vcc
	s_or_b64 s[46:47], vcc, s[46:47]
	s_andn2_b64 vcc, s[48:49], exec
	s_and_b64 s[48:49], s[50:51], exec
	s_or_b64 s[48:49], vcc, s[48:49]
	s_andn2_b64 exec, exec, s[46:47]
	s_cbranch_execz .LBB2_394
.LBB2_390:                              ;   Parent Loop BB2_338 Depth=1
                                        ; =>  This Inner Loop Header: Depth=2
	s_add_i32 s56, s56, 1
	s_cmpk_lg_i32 s56, 0x2710
	s_cselect_b64 s[52:53], -1, 0
	s_and_b64 vcc, exec, s[52:53]
                                        ; implicit-def: $sgpr54_sgpr55
	s_cbranch_vccnz .LBB2_392
; %bb.391:                              ;   in Loop: Header=BB2_390 Depth=2
	s_trap 2
	ds_read_b64 v[4:5], v0
	s_andn2_b64 s[52:53], s[52:53], exec
	s_mov_b32 s56, 0
	s_mov_b64 s[54:55], -1
	s_waitcnt lgkmcnt(0)
	flat_load_dword v3, v[4:5] glc
	s_waitcnt vmcnt(0) lgkmcnt(0)
	buffer_invl2
	buffer_wbinvl1_vol
	v_cmp_eq_u32_e32 vcc, 0, v3
	s_and_b64 vcc, vcc, exec
	s_or_b64 s[52:53], s[52:53], vcc
.LBB2_392:                              ;   in Loop: Header=BB2_390 Depth=2
	s_andn2_b64 s[50:51], s[50:51], exec
	s_and_b64 s[54:55], s[54:55], exec
	s_mov_b64 vcc, -1
	s_or_b64 s[50:51], s[50:51], s[54:55]
	s_and_saveexec_b64 s[54:55], s[52:53]
	s_cbranch_execz .LBB2_389
; %bb.393:                              ;   in Loop: Header=BB2_390 Depth=2
	s_sleep 1
	s_trap 2
	ds_read_b64 v[4:5], v0
	s_andn2_b64 s[50:51], s[50:51], exec
	s_waitcnt lgkmcnt(0)
	v_cmp_ge_u64_e32 vcc, v[4:5], v[38:39]
	s_orn2_b64 vcc, vcc, exec
	s_branch .LBB2_389
.LBB2_394:                              ;   in Loop: Header=BB2_338 Depth=1
	s_or_b64 exec, exec, s[46:47]
	s_and_saveexec_b64 vcc, s[48:49]
	s_xor_b64 vcc, exec, vcc
	s_cbranch_execz .LBB2_396
; %bb.395:                              ;   in Loop: Header=BB2_338 Depth=1
	v_mov_b32_e32 v3, 1
	ds_write_b32 v0, v3
	s_trap 2
.LBB2_396:                              ;   in Loop: Header=BB2_338 Depth=1
	s_or_b64 exec, exec, s[44:45]
	;;#ASMSTART
	s_wakeup
	;;#ASMEND
.LBB2_397:                              ;   in Loop: Header=BB2_338 Depth=1
	s_or_b64 exec, exec, s[42:43]
.LBB2_398:                              ;   in Loop: Header=BB2_338 Depth=1
	s_andn2_saveexec_b64 vcc, s[40:41]
	s_cbranch_execz .LBB2_400
; %bb.399:                              ;   in Loop: Header=BB2_338 Depth=1
	s_waitcnt vmcnt(0) lgkmcnt(0)
	buffer_wbinvl1_vol
	s_barrier
.LBB2_400:                              ;   in Loop: Header=BB2_338 Depth=1
	s_or_b64 exec, exec, vcc
.LBB2_401:                              ;   in Loop: Header=BB2_338 Depth=1
	s_or_b64 exec, exec, s[18:19]
	s_trap 2
	ds_read_b64 v[4:5], v0
	v_min_u32_e32 v28, v28, v42
	s_waitcnt lgkmcnt(0)
	v_readfirstlane_b32 s18, v4
	v_readfirstlane_b32 s19, v5
	s_cmp_eq_u64 s[18:19], 0
	s_cselect_b64 s[18:19], -1, 0
	s_or_b64 vcc, s[18:19], s[18:19]
	s_mov_b64 s[18:19], 0
	s_and_b64 vcc, exec, vcc
	s_cbranch_vccnz .LBB2_538
; %bb.402:                              ;   in Loop: Header=BB2_338 Depth=1
	s_mov_b64 s[18:19], -1
	s_and_saveexec_b64 s[40:41], s[14:15]
	s_cbranch_execz .LBB2_404
; %bb.403:                              ;   in Loop: Header=BB2_338 Depth=1
	ds_read_b32 v3, v0 offset:720
	s_waitcnt lgkmcnt(0)
	v_and_b32_e32 v3, 15, v3
	v_cmp_eq_u32_e32 vcc, 0, v3
	s_orn2_b64 s[18:19], vcc, exec
.LBB2_404:                              ;   in Loop: Header=BB2_338 Depth=1
	s_or_b64 exec, exec, s[40:41]
	s_and_saveexec_b64 s[40:41], s[16:17]
	s_cbranch_execz .LBB2_406
; %bb.405:                              ;   in Loop: Header=BB2_338 Depth=1
	ds_read_b32 v3, v0 offset:784
	s_waitcnt lgkmcnt(0)
	v_and_b32_e32 v3, 15, v3
	v_cmp_eq_u32_e32 vcc, 0, v3
	s_and_b64 vcc, s[18:19], vcc
	s_andn2_b64 s[18:19], s[18:19], exec
	s_and_b64 vcc, vcc, exec
	s_or_b64 s[18:19], s[18:19], vcc
.LBB2_406:                              ;   in Loop: Header=BB2_338 Depth=1
	s_or_b64 exec, exec, s[40:41]
	v_cmp_eq_u32_e32 vcc, 0, v1
	s_xor_b64 s[18:19], s[18:19], -1
	v_cndmask_b32_e32 v1, 0, v28, vcc
	v_cndmask_b32_e64 v4, 0, 1, s[18:19]
	v_mov_b32_e32 v3, 0
	v_lshlrev_b32_e32 v50, 1, v1
	s_mov_b64 s[42:43], -1
	;;#ASMSTART
	;;#ASMEND
	v_cmp_ne_u32_e32 vcc, 0, v4
	s_cbranch_vccz .LBB2_408
; %bb.407:                              ;   in Loop: Header=BB2_338 Depth=1
	v_mov_b32_e32 v18, v0
	v_mov_b32_e32 v10, v57
	s_and_saveexec_b64 s[18:19], s[42:43]
	s_cbranch_execnz .LBB2_517
	s_branch .LBB2_537
.LBB2_408:                              ;   in Loop: Header=BB2_338 Depth=1
	v_lshrrev_b32_e32 v3, 10, v1
	v_sub_u32_e32 v43, v3, v57
	v_cmp_lt_i32_e32 vcc, 0, v43
	s_and_saveexec_b64 s[18:19], vcc
	s_cbranch_execz .LBB2_476
; %bb.409:                              ;   in Loop: Header=BB2_338 Depth=1
	s_trap 2
	ds_read_b128 v[10:13], v0
	ds_read_b64 v[4:5], v0
	v_accvgpr_read_b32 v6, a16
	v_accvgpr_write_b32 a20, v3
	v_accvgpr_read_b32 v3, a17
	s_waitcnt lgkmcnt(0)
	v_add_co_u32_e32 v44, vcc, v10, v6
	v_addc_co_u32_e32 v45, vcc, v11, v3, vcc
	v_add_co_u32_e32 v46, vcc, v12, v6
	v_addc_co_u32_e32 v47, vcc, v13, v3, vcc
	s_waitcnt lgkmcnt(0)
	v_add_co_u32_e32 v56, vcc, v4, v6
	v_accvgpr_write_b32 a3, v57
	v_addc_co_u32_e32 v57, vcc, v5, v3, vcc
	s_mov_b64 s[40:41], 0
	s_branch .LBB2_411
.LBB2_410:                              ;   in Loop: Header=BB2_411 Depth=2
	s_or_b64 exec, exec, s[42:43]
	v_add_co_u32_e32 v44, vcc, v44, v27
	v_addc_co_u32_e32 v45, vcc, v45, v31, vcc
	v_lshrrev_b32_e32 v4, 16, v58
	v_add_co_u32_e32 v46, vcc, v46, v27
	v_and_or_b32 v5, v23, s63, v4
	v_lshrrev_b32_e32 v4, 16, v29
	v_lshrrev_b32_e32 v6, 16, v59
	;; [unrolled: 1-line block ×4, first 2 shown]
	v_addc_co_u32_e32 v47, vcc, v47, v31, vcc
	v_sub_u32_e32 v43, v43, v30
	v_and_or_b32 v4, v22, s63, v4
	v_and_or_b32 v6, v20, s63, v6
	;; [unrolled: 1-line block ×4, first 2 shown]
	v_lshrrev_b32_e32 v8, 16, v25
	v_lshrrev_b32_e32 v10, 16, v19
	;; [unrolled: 1-line block ×3, first 2 shown]
	v_cmp_gt_i32_e32 vcc, 1, v43
	v_and_or_b32 v8, v14, s63, v8
	v_and_or_b32 v10, v12, s63, v10
	;; [unrolled: 1-line block ×3, first 2 shown]
	global_store_dwordx4 v[56:57], v[4:7], off glc slc
	global_store_dwordx4 v[56:57], v[8:11], off offset:1024 glc slc
	s_or_b64 s[40:41], vcc, s[40:41]
	v_add_co_u32_e32 v56, vcc, v56, v27
	v_addc_co_u32_e32 v57, vcc, v57, v31, vcc
	s_andn2_b64 exec, exec, s[40:41]
	s_cbranch_execz .LBB2_475
.LBB2_411:                              ;   Parent Loop BB2_338 Depth=1
                                        ; =>  This Inner Loop Header: Depth=2
	global_load_dwordx4 v[18:21], v[46:47], off glc slc
	global_load_dwordx4 v[22:25], v[44:45], off glc slc
	global_load_dwordx4 v[14:17], v[44:45], off offset:1024 glc slc
	global_load_dwordx4 v[10:13], v[46:47], off offset:1024 glc slc
                                        ; implicit-def: $vgpr29
	s_waitcnt vmcnt(0)
	v_lshlrev_b32_e32 v4, 16, v18
	s_waitcnt vmcnt(2)
	v_lshlrev_b32_e32 v6, 16, v22
	v_pk_add_f32 v[58:59], v[4:5], v[6:7] op_sel_hi:[0,1]
	v_and_b32_e32 v3, 0x7f800000, v58
	v_cmp_ne_u32_e32 vcc, s60, v3
	s_and_saveexec_b64 s[42:43], vcc
	s_xor_b64 vcc, exec, s[42:43]
; %bb.412:                              ;   in Loop: Header=BB2_411 Depth=2
	v_bfe_u32 v3, v58, 16, 1
	v_add3_u32 v29, v58, v3, s61
                                        ; implicit-def: $vgpr58_vgpr59
; %bb.413:                              ;   in Loop: Header=BB2_411 Depth=2
	s_andn2_saveexec_b64 s[42:43], vcc
; %bb.414:                              ;   in Loop: Header=BB2_411 Depth=2
	v_or_b32_e32 v3, 0x10000, v58
	v_cmp_eq_u32_sdwa vcc, v58, v51 src0_sel:WORD_0 src1_sel:DWORD
	v_cndmask_b32_e32 v29, v3, v58, vcc
; %bb.415:                              ;   in Loop: Header=BB2_411 Depth=2
	s_or_b64 exec, exec, s[42:43]
	v_and_b32_e32 v4, 0xffff0000, v18
	v_and_b32_e32 v6, 0xffff0000, v22
	v_pk_add_f32 v[58:59], v[4:5], v[6:7] op_sel_hi:[0,1]
	v_and_b32_e32 v3, 0x7f800000, v58
	v_cmp_ne_u32_e32 vcc, s60, v3
                                        ; implicit-def: $vgpr22
	s_and_saveexec_b64 s[42:43], vcc
	s_xor_b64 vcc, exec, s[42:43]
; %bb.416:                              ;   in Loop: Header=BB2_411 Depth=2
	v_bfe_u32 v3, v58, 16, 1
	v_add3_u32 v22, v58, v3, s61
                                        ; implicit-def: $vgpr58_vgpr59
; %bb.417:                              ;   in Loop: Header=BB2_411 Depth=2
	s_andn2_saveexec_b64 s[42:43], vcc
; %bb.418:                              ;   in Loop: Header=BB2_411 Depth=2
	v_or_b32_e32 v3, 0x10000, v58
	v_cmp_eq_u32_sdwa vcc, v58, v51 src0_sel:WORD_0 src1_sel:DWORD
	v_cndmask_b32_e32 v22, v3, v58, vcc
; %bb.419:                              ;   in Loop: Header=BB2_411 Depth=2
	s_or_b64 exec, exec, s[42:43]
	v_mov_b32_e32 v3, v19
	v_lshlrev_b32_e32 v4, 16, v3
	v_lshlrev_b32_e32 v6, 16, v23
	v_pk_add_f32 v[18:19], v[4:5], v[6:7] op_sel_hi:[0,1]
	v_and_b32_e32 v4, 0x7f800000, v18
	v_cmp_ne_u32_e32 vcc, s60, v4
                                        ; implicit-def: $vgpr58
	s_and_saveexec_b64 s[42:43], vcc
	s_xor_b64 vcc, exec, s[42:43]
; %bb.420:                              ;   in Loop: Header=BB2_411 Depth=2
	v_bfe_u32 v4, v18, 16, 1
	v_add3_u32 v58, v18, v4, s61
                                        ; implicit-def: $vgpr18_vgpr19
; %bb.421:                              ;   in Loop: Header=BB2_411 Depth=2
	s_andn2_saveexec_b64 s[42:43], vcc
; %bb.422:                              ;   in Loop: Header=BB2_411 Depth=2
	v_or_b32_e32 v4, 0x10000, v18
	v_cmp_eq_u32_sdwa vcc, v18, v51 src0_sel:WORD_0 src1_sel:DWORD
	v_cndmask_b32_e32 v58, v4, v18, vcc
; %bb.423:                              ;   in Loop: Header=BB2_411 Depth=2
	s_or_b64 exec, exec, s[42:43]
	v_and_b32_e32 v4, 0xffff0000, v3
	v_and_b32_e32 v6, 0xffff0000, v23
	v_pk_add_f32 v[18:19], v[4:5], v[6:7] op_sel_hi:[0,1]
	v_and_b32_e32 v3, 0x7f800000, v18
	v_cmp_ne_u32_e32 vcc, s60, v3
                                        ; implicit-def: $vgpr23
	s_and_saveexec_b64 s[42:43], vcc
	s_xor_b64 vcc, exec, s[42:43]
; %bb.424:                              ;   in Loop: Header=BB2_411 Depth=2
	v_bfe_u32 v3, v18, 16, 1
	v_add3_u32 v23, v18, v3, s61
                                        ; implicit-def: $vgpr18_vgpr19
; %bb.425:                              ;   in Loop: Header=BB2_411 Depth=2
	s_andn2_saveexec_b64 s[42:43], vcc
; %bb.426:                              ;   in Loop: Header=BB2_411 Depth=2
	v_or_b32_e32 v3, 0x10000, v18
	v_cmp_eq_u32_sdwa vcc, v18, v51 src0_sel:WORD_0 src1_sel:DWORD
	v_cndmask_b32_e32 v23, v3, v18, vcc
; %bb.427:                              ;   in Loop: Header=BB2_411 Depth=2
	s_or_b64 exec, exec, s[42:43]
	v_lshlrev_b32_e32 v4, 16, v20
	v_lshlrev_b32_e32 v6, 16, v24
	v_pk_add_f32 v[18:19], v[4:5], v[6:7] op_sel_hi:[0,1]
	v_and_b32_e32 v3, 0x7f800000, v18
	v_cmp_ne_u32_e32 vcc, s60, v3
                                        ; implicit-def: $vgpr59
	s_and_saveexec_b64 s[42:43], vcc
	s_xor_b64 vcc, exec, s[42:43]
; %bb.428:                              ;   in Loop: Header=BB2_411 Depth=2
	v_bfe_u32 v3, v18, 16, 1
	v_add3_u32 v59, v18, v3, s61
                                        ; implicit-def: $vgpr18_vgpr19
; %bb.429:                              ;   in Loop: Header=BB2_411 Depth=2
	s_andn2_saveexec_b64 s[42:43], vcc
; %bb.430:                              ;   in Loop: Header=BB2_411 Depth=2
	v_or_b32_e32 v3, 0x10000, v18
	v_cmp_eq_u32_sdwa vcc, v18, v51 src0_sel:WORD_0 src1_sel:DWORD
	v_cndmask_b32_e32 v59, v3, v18, vcc
; %bb.431:                              ;   in Loop: Header=BB2_411 Depth=2
	s_or_b64 exec, exec, s[42:43]
	v_and_b32_e32 v4, 0xffff0000, v20
	v_and_b32_e32 v6, 0xffff0000, v24
	v_pk_add_f32 v[18:19], v[4:5], v[6:7] op_sel_hi:[0,1]
	v_and_b32_e32 v3, 0x7f800000, v18
	v_cmp_ne_u32_e32 vcc, s60, v3
                                        ; implicit-def: $vgpr20
	s_and_saveexec_b64 s[42:43], vcc
	s_xor_b64 vcc, exec, s[42:43]
; %bb.432:                              ;   in Loop: Header=BB2_411 Depth=2
	v_bfe_u32 v3, v18, 16, 1
	v_add3_u32 v20, v18, v3, s61
                                        ; implicit-def: $vgpr18_vgpr19
; %bb.433:                              ;   in Loop: Header=BB2_411 Depth=2
	s_andn2_saveexec_b64 s[42:43], vcc
; %bb.434:                              ;   in Loop: Header=BB2_411 Depth=2
	v_or_b32_e32 v3, 0x10000, v18
	v_cmp_eq_u32_sdwa vcc, v18, v51 src0_sel:WORD_0 src1_sel:DWORD
	v_cndmask_b32_e32 v20, v3, v18, vcc
; %bb.435:                              ;   in Loop: Header=BB2_411 Depth=2
	s_or_b64 exec, exec, s[42:43]
	v_mov_b32_e32 v3, v25
	v_lshlrev_b32_e32 v4, 16, v21
	v_lshlrev_b32_e32 v6, 16, v3
	v_pk_add_f32 v[18:19], v[4:5], v[6:7] op_sel_hi:[0,1]
	v_and_b32_e32 v4, 0x7f800000, v18
	v_cmp_ne_u32_e32 vcc, s60, v4
                                        ; implicit-def: $vgpr24
	s_and_saveexec_b64 s[42:43], vcc
	s_xor_b64 vcc, exec, s[42:43]
; %bb.436:                              ;   in Loop: Header=BB2_411 Depth=2
	v_bfe_u32 v4, v18, 16, 1
	v_add3_u32 v24, v18, v4, s61
                                        ; implicit-def: $vgpr18_vgpr19
; %bb.437:                              ;   in Loop: Header=BB2_411 Depth=2
	s_andn2_saveexec_b64 s[42:43], vcc
; %bb.438:                              ;   in Loop: Header=BB2_411 Depth=2
	v_or_b32_e32 v4, 0x10000, v18
	v_cmp_eq_u32_sdwa vcc, v18, v51 src0_sel:WORD_0 src1_sel:DWORD
	v_cndmask_b32_e32 v24, v4, v18, vcc
; %bb.439:                              ;   in Loop: Header=BB2_411 Depth=2
	s_or_b64 exec, exec, s[42:43]
	v_and_b32_e32 v4, 0xffff0000, v21
	v_and_b32_e32 v6, 0xffff0000, v3
	v_pk_add_f32 v[18:19], v[4:5], v[6:7] op_sel_hi:[0,1]
	v_and_b32_e32 v3, 0x7f800000, v18
	v_cmp_ne_u32_e32 vcc, s60, v3
                                        ; implicit-def: $vgpr21
	s_and_saveexec_b64 s[42:43], vcc
	s_xor_b64 vcc, exec, s[42:43]
; %bb.440:                              ;   in Loop: Header=BB2_411 Depth=2
	v_bfe_u32 v3, v18, 16, 1
	v_add3_u32 v21, v18, v3, s61
                                        ; implicit-def: $vgpr18_vgpr19
; %bb.441:                              ;   in Loop: Header=BB2_411 Depth=2
	s_andn2_saveexec_b64 s[42:43], vcc
; %bb.442:                              ;   in Loop: Header=BB2_411 Depth=2
	v_or_b32_e32 v3, 0x10000, v18
	v_cmp_eq_u32_sdwa vcc, v18, v51 src0_sel:WORD_0 src1_sel:DWORD
	v_cndmask_b32_e32 v21, v3, v18, vcc
; %bb.443:                              ;   in Loop: Header=BB2_411 Depth=2
	s_or_b64 exec, exec, s[42:43]
	s_waitcnt vmcnt(0)
	v_lshlrev_b32_e32 v4, 16, v10
	v_lshlrev_b32_e32 v6, 16, v14
	v_pk_add_f32 v[18:19], v[4:5], v[6:7] op_sel_hi:[0,1]
	v_and_b32_e32 v3, 0x7f800000, v18
	v_cmp_ne_u32_e32 vcc, s60, v3
                                        ; implicit-def: $vgpr25
	s_and_saveexec_b64 s[42:43], vcc
	s_xor_b64 vcc, exec, s[42:43]
; %bb.444:                              ;   in Loop: Header=BB2_411 Depth=2
	v_bfe_u32 v3, v18, 16, 1
	v_add3_u32 v25, v18, v3, s61
                                        ; implicit-def: $vgpr18_vgpr19
; %bb.445:                              ;   in Loop: Header=BB2_411 Depth=2
	s_andn2_saveexec_b64 s[42:43], vcc
; %bb.446:                              ;   in Loop: Header=BB2_411 Depth=2
	v_or_b32_e32 v3, 0x10000, v18
	v_cmp_eq_u32_sdwa vcc, v18, v51 src0_sel:WORD_0 src1_sel:DWORD
	v_cndmask_b32_e32 v25, v3, v18, vcc
; %bb.447:                              ;   in Loop: Header=BB2_411 Depth=2
	s_or_b64 exec, exec, s[42:43]
	v_and_b32_e32 v4, 0xffff0000, v10
	v_and_b32_e32 v6, 0xffff0000, v14
	v_pk_add_f32 v[18:19], v[4:5], v[6:7] op_sel_hi:[0,1]
	v_and_b32_e32 v3, 0x7f800000, v18
	v_cmp_ne_u32_e32 vcc, s60, v3
                                        ; implicit-def: $vgpr14
	s_and_saveexec_b64 s[42:43], vcc
	s_xor_b64 vcc, exec, s[42:43]
; %bb.448:                              ;   in Loop: Header=BB2_411 Depth=2
	v_bfe_u32 v3, v18, 16, 1
	v_add3_u32 v14, v18, v3, s61
                                        ; implicit-def: $vgpr18_vgpr19
; %bb.449:                              ;   in Loop: Header=BB2_411 Depth=2
	s_andn2_saveexec_b64 s[42:43], vcc
; %bb.450:                              ;   in Loop: Header=BB2_411 Depth=2
	v_or_b32_e32 v3, 0x10000, v18
	v_cmp_eq_u32_sdwa vcc, v18, v51 src0_sel:WORD_0 src1_sel:DWORD
	v_cndmask_b32_e32 v14, v3, v18, vcc
; %bb.451:                              ;   in Loop: Header=BB2_411 Depth=2
	s_or_b64 exec, exec, s[42:43]
	v_mov_b32_e32 v3, v11
	v_lshlrev_b32_e32 v4, 16, v3
	v_lshlrev_b32_e32 v6, 16, v15
	v_pk_add_f32 v[10:11], v[4:5], v[6:7] op_sel_hi:[0,1]
	v_and_b32_e32 v4, 0x7f800000, v10
	v_cmp_ne_u32_e32 vcc, s60, v4
                                        ; implicit-def: $vgpr18
	s_and_saveexec_b64 s[42:43], vcc
	s_xor_b64 vcc, exec, s[42:43]
; %bb.452:                              ;   in Loop: Header=BB2_411 Depth=2
	v_bfe_u32 v4, v10, 16, 1
	v_add3_u32 v18, v10, v4, s61
                                        ; implicit-def: $vgpr10_vgpr11
; %bb.453:                              ;   in Loop: Header=BB2_411 Depth=2
	s_andn2_saveexec_b64 s[42:43], vcc
; %bb.454:                              ;   in Loop: Header=BB2_411 Depth=2
	v_or_b32_e32 v4, 0x10000, v10
	v_cmp_eq_u32_sdwa vcc, v10, v51 src0_sel:WORD_0 src1_sel:DWORD
	v_cndmask_b32_e32 v18, v4, v10, vcc
; %bb.455:                              ;   in Loop: Header=BB2_411 Depth=2
	s_or_b64 exec, exec, s[42:43]
	v_and_b32_e32 v4, 0xffff0000, v3
	v_and_b32_e32 v6, 0xffff0000, v15
	v_pk_add_f32 v[10:11], v[4:5], v[6:7] op_sel_hi:[0,1]
	v_and_b32_e32 v3, 0x7f800000, v10
	v_cmp_ne_u32_e32 vcc, s60, v3
                                        ; implicit-def: $vgpr15
	s_and_saveexec_b64 s[42:43], vcc
	s_xor_b64 vcc, exec, s[42:43]
; %bb.456:                              ;   in Loop: Header=BB2_411 Depth=2
	v_bfe_u32 v3, v10, 16, 1
	v_add3_u32 v15, v10, v3, s61
                                        ; implicit-def: $vgpr10_vgpr11
; %bb.457:                              ;   in Loop: Header=BB2_411 Depth=2
	s_andn2_saveexec_b64 s[42:43], vcc
; %bb.458:                              ;   in Loop: Header=BB2_411 Depth=2
	v_or_b32_e32 v3, 0x10000, v10
	v_cmp_eq_u32_sdwa vcc, v10, v51 src0_sel:WORD_0 src1_sel:DWORD
	v_cndmask_b32_e32 v15, v3, v10, vcc
; %bb.459:                              ;   in Loop: Header=BB2_411 Depth=2
	s_or_b64 exec, exec, s[42:43]
	v_lshlrev_b32_e32 v4, 16, v12
	v_lshlrev_b32_e32 v6, 16, v16
	v_pk_add_f32 v[10:11], v[4:5], v[6:7] op_sel_hi:[0,1]
	v_and_b32_e32 v3, 0x7f800000, v10
	v_cmp_ne_u32_e32 vcc, s60, v3
                                        ; implicit-def: $vgpr19
	s_and_saveexec_b64 s[42:43], vcc
	s_xor_b64 vcc, exec, s[42:43]
; %bb.460:                              ;   in Loop: Header=BB2_411 Depth=2
	v_bfe_u32 v3, v10, 16, 1
	v_add3_u32 v19, v10, v3, s61
                                        ; implicit-def: $vgpr10_vgpr11
; %bb.461:                              ;   in Loop: Header=BB2_411 Depth=2
	s_andn2_saveexec_b64 s[42:43], vcc
; %bb.462:                              ;   in Loop: Header=BB2_411 Depth=2
	v_or_b32_e32 v3, 0x10000, v10
	v_cmp_eq_u32_sdwa vcc, v10, v51 src0_sel:WORD_0 src1_sel:DWORD
	v_cndmask_b32_e32 v19, v3, v10, vcc
; %bb.463:                              ;   in Loop: Header=BB2_411 Depth=2
	s_or_b64 exec, exec, s[42:43]
	v_and_b32_e32 v4, 0xffff0000, v12
	v_and_b32_e32 v6, 0xffff0000, v16
	v_pk_add_f32 v[10:11], v[4:5], v[6:7] op_sel_hi:[0,1]
	v_and_b32_e32 v3, 0x7f800000, v10
	v_cmp_ne_u32_e32 vcc, s60, v3
                                        ; implicit-def: $vgpr12
	s_and_saveexec_b64 s[42:43], vcc
	s_xor_b64 vcc, exec, s[42:43]
; %bb.464:                              ;   in Loop: Header=BB2_411 Depth=2
	v_bfe_u32 v3, v10, 16, 1
	v_add3_u32 v12, v10, v3, s61
                                        ; implicit-def: $vgpr10_vgpr11
; %bb.465:                              ;   in Loop: Header=BB2_411 Depth=2
	s_andn2_saveexec_b64 s[42:43], vcc
; %bb.466:                              ;   in Loop: Header=BB2_411 Depth=2
	v_or_b32_e32 v3, 0x10000, v10
	v_cmp_eq_u32_sdwa vcc, v10, v51 src0_sel:WORD_0 src1_sel:DWORD
	v_cndmask_b32_e32 v12, v3, v10, vcc
; %bb.467:                              ;   in Loop: Header=BB2_411 Depth=2
	s_or_b64 exec, exec, s[42:43]
	v_mov_b32_e32 v3, v17
	v_lshlrev_b32_e32 v4, 16, v13
	v_lshlrev_b32_e32 v6, 16, v3
	v_pk_add_f32 v[10:11], v[4:5], v[6:7] op_sel_hi:[0,1]
	v_and_b32_e32 v4, 0x7f800000, v10
	v_cmp_ne_u32_e32 vcc, s60, v4
                                        ; implicit-def: $vgpr16
	s_and_saveexec_b64 s[42:43], vcc
	s_xor_b64 vcc, exec, s[42:43]
; %bb.468:                              ;   in Loop: Header=BB2_411 Depth=2
	v_bfe_u32 v4, v10, 16, 1
	v_add3_u32 v16, v10, v4, s61
                                        ; implicit-def: $vgpr10_vgpr11
; %bb.469:                              ;   in Loop: Header=BB2_411 Depth=2
	s_andn2_saveexec_b64 s[42:43], vcc
; %bb.470:                              ;   in Loop: Header=BB2_411 Depth=2
	v_or_b32_e32 v4, 0x10000, v10
	v_cmp_eq_u32_sdwa vcc, v10, v51 src0_sel:WORD_0 src1_sel:DWORD
	v_cndmask_b32_e32 v16, v4, v10, vcc
; %bb.471:                              ;   in Loop: Header=BB2_411 Depth=2
	s_or_b64 exec, exec, s[42:43]
	v_and_b32_e32 v4, 0xffff0000, v13
	v_and_b32_e32 v6, 0xffff0000, v3
	v_pk_add_f32 v[10:11], v[4:5], v[6:7] op_sel_hi:[0,1]
	v_and_b32_e32 v3, 0x7f800000, v10
	v_cmp_ne_u32_e32 vcc, s60, v3
                                        ; implicit-def: $vgpr3
	s_and_saveexec_b64 s[42:43], vcc
	s_xor_b64 vcc, exec, s[42:43]
; %bb.472:                              ;   in Loop: Header=BB2_411 Depth=2
	v_bfe_u32 v3, v10, 16, 1
	v_add3_u32 v3, v10, v3, s61
                                        ; implicit-def: $vgpr10_vgpr11
; %bb.473:                              ;   in Loop: Header=BB2_411 Depth=2
	s_andn2_saveexec_b64 s[42:43], vcc
	s_cbranch_execz .LBB2_410
; %bb.474:                              ;   in Loop: Header=BB2_411 Depth=2
	v_or_b32_e32 v3, 0x10000, v10
	v_cmp_eq_u32_sdwa vcc, v10, v51 src0_sel:WORD_0 src1_sel:DWORD
	v_cndmask_b32_e32 v3, v3, v10, vcc
	s_branch .LBB2_410
.LBB2_475:                              ;   in Loop: Header=BB2_338 Depth=1
	s_or_b64 exec, exec, s[40:41]
	v_accvgpr_read_b32 v45, a5
	v_accvgpr_read_b32 v44, a4
	;; [unrolled: 1-line block ×5, first 2 shown]
.LBB2_476:                              ;   in Loop: Header=BB2_338 Depth=1
	s_or_b64 exec, exec, s[18:19]
	v_lshlrev_b32_e32 v29, 11, v3
	v_cmp_ne_u32_e32 vcc, v50, v29
	s_mov_b64 s[42:43], 0
	v_mov_b32_e32 v3, 0
                                        ; implicit-def: $vgpr18
                                        ; implicit-def: $vgpr10
	s_and_saveexec_b64 s[40:41], vcc
	s_cbranch_execz .LBB2_516
; %bb.477:                              ;   in Loop: Header=BB2_338 Depth=1
	v_lshlrev_b32_e32 v3, 6, v43
	v_accvgpr_read_b32 v5, a15
	v_sub_u32_e32 v3, v5, v3
	v_ashrrev_i32_e32 v5, 31, v3
	v_lshrrev_b32_e32 v5, 26, v5
	v_add_u32_e32 v5, v3, v5
	v_sub_u32_e32 v4, v50, v29
	v_ashrrev_i32_e32 v6, 6, v5
	v_and_b32_e32 v5, 0xffffffc0, v5
	v_sub_u32_e32 v43, v3, v5
	v_ashrrev_i32_e32 v5, 31, v4
	v_lshrrev_b32_e32 v5, 22, v5
	v_add_u32_e32 v5, v4, v5
	v_and_b32_e32 v44, 0xfffffc00, v5
	v_lshlrev_b32_e32 v3, 4, v43
	v_sub_u32_e32 v46, v4, v44
	v_lshl_add_u32 v3, v6, 10, v3
	v_ashrrev_i32_e32 v7, 10, v5
	v_cmp_lt_i32_e32 vcc, 15, v46
	v_sub_u32_e32 v47, v4, v3
	v_addc_co_u32_e64 v4, s[18:19], 0, v7, vcc
	v_sub_u32_e32 v45, v4, v6
	v_cmp_lt_i32_e64 s[18:19], 15, v47
	s_and_saveexec_b64 s[42:43], s[18:19]
	s_cbranch_execz .LBB2_513
; %bb.478:                              ;   in Loop: Header=BB2_338 Depth=1
	s_trap 2
	ds_read_b128 v[4:7], v0
	ds_read_b64 v[8:9], v0
	v_add_u32_e32 v3, v3, v29
	v_ashrrev_i32_e32 v10, 31, v3
	s_mov_b64 s[44:45], 0
	s_waitcnt lgkmcnt(0)
	v_add_co_u32_e64 v18, s[18:19], v4, v3
	v_addc_co_u32_e64 v19, s[18:19], v5, v10, s[18:19]
	v_add_co_u32_e64 v20, s[18:19], v6, v3
	v_addc_co_u32_e64 v21, s[18:19], v7, v10, s[18:19]
	s_waitcnt lgkmcnt(0)
	v_add_co_u32_e64 v22, s[18:19], v8, v3
	v_addc_co_u32_e64 v23, s[18:19], v9, v10, s[18:19]
	s_branch .LBB2_480
.LBB2_479:                              ;   in Loop: Header=BB2_480 Depth=2
	s_or_b64 exec, exec, s[46:47]
	v_add_co_u32_e64 v18, s[18:19], v18, v62
	v_lshrrev_b32_e32 v4, 16, v24
	v_addc_co_u32_e64 v19, s[18:19], v19, v26, s[18:19]
	v_and_or_b32 v5, v15, s63, v4
	v_lshrrev_b32_e32 v4, 16, v56
	v_lshrrev_b32_e32 v6, 16, v25
	;; [unrolled: 1-line block ×3, first 2 shown]
	v_add_co_u32_e64 v20, s[18:19], v20, v62
	v_and_or_b32 v4, v14, s63, v4
	v_and_or_b32 v6, v12, s63, v6
	;; [unrolled: 1-line block ×3, first 2 shown]
	v_addc_co_u32_e64 v21, s[18:19], v21, v26, s[18:19]
	global_store_dwordx4 v[22:23], v[4:7], off glc slc
	v_add_co_u32_e64 v22, s[18:19], v22, v62
	v_accvgpr_read_b32 v3, a18
	v_addc_co_u32_e64 v23, s[18:19], v23, v26, s[18:19]
	v_sub_u32_e32 v47, v47, v3
	v_cmp_gt_i32_e64 s[18:19], 16, v47
	s_or_b64 s[44:45], s[18:19], s[44:45]
	v_sub_u32_e32 v45, v45, v30
	s_andn2_b64 exec, exec, s[44:45]
	s_cbranch_execz .LBB2_512
.LBB2_480:                              ;   Parent Loop BB2_338 Depth=1
                                        ; =>  This Inner Loop Header: Depth=2
	global_load_dwordx4 v[10:13], v[20:21], off glc slc
	global_load_dwordx4 v[14:17], v[18:19], off glc slc
                                        ; implicit-def: $vgpr56
	s_waitcnt vmcnt(0)
	v_lshlrev_b32_e32 v4, 16, v10
	s_waitcnt vmcnt(0)
	v_lshlrev_b32_e32 v6, 16, v14
	v_pk_add_f32 v[24:25], v[4:5], v[6:7] op_sel_hi:[0,1]
	v_and_b32_e32 v3, 0x7f800000, v24
	v_cmp_ne_u32_e64 s[18:19], s60, v3
	s_and_saveexec_b64 s[46:47], s[18:19]
	s_xor_b64 s[18:19], exec, s[46:47]
; %bb.481:                              ;   in Loop: Header=BB2_480 Depth=2
	v_bfe_u32 v3, v24, 16, 1
	v_add3_u32 v56, v24, v3, s61
                                        ; implicit-def: $vgpr24_vgpr25
; %bb.482:                              ;   in Loop: Header=BB2_480 Depth=2
	s_andn2_saveexec_b64 s[46:47], s[18:19]
; %bb.483:                              ;   in Loop: Header=BB2_480 Depth=2
	v_or_b32_e32 v3, 0x10000, v24
	v_cmp_eq_u32_sdwa s[18:19], v24, v51 src0_sel:WORD_0 src1_sel:DWORD
	v_cndmask_b32_e64 v56, v3, v24, s[18:19]
; %bb.484:                              ;   in Loop: Header=BB2_480 Depth=2
	s_or_b64 exec, exec, s[46:47]
	v_and_b32_e32 v4, 0xffff0000, v10
	v_and_b32_e32 v6, 0xffff0000, v14
	v_pk_add_f32 v[24:25], v[4:5], v[6:7] op_sel_hi:[0,1]
	v_and_b32_e32 v3, 0x7f800000, v24
	v_cmp_ne_u32_e64 s[18:19], s60, v3
                                        ; implicit-def: $vgpr14
	s_and_saveexec_b64 s[46:47], s[18:19]
	s_xor_b64 s[18:19], exec, s[46:47]
; %bb.485:                              ;   in Loop: Header=BB2_480 Depth=2
	v_bfe_u32 v3, v24, 16, 1
	v_add3_u32 v14, v24, v3, s61
                                        ; implicit-def: $vgpr24_vgpr25
; %bb.486:                              ;   in Loop: Header=BB2_480 Depth=2
	s_andn2_saveexec_b64 s[46:47], s[18:19]
; %bb.487:                              ;   in Loop: Header=BB2_480 Depth=2
	v_or_b32_e32 v3, 0x10000, v24
	v_cmp_eq_u32_sdwa s[18:19], v24, v51 src0_sel:WORD_0 src1_sel:DWORD
	v_cndmask_b32_e64 v14, v3, v24, s[18:19]
; %bb.488:                              ;   in Loop: Header=BB2_480 Depth=2
	s_or_b64 exec, exec, s[46:47]
	v_mov_b32_e32 v3, v11
	v_lshlrev_b32_e32 v4, 16, v3
	v_lshlrev_b32_e32 v6, 16, v15
	v_pk_add_f32 v[10:11], v[4:5], v[6:7] op_sel_hi:[0,1]
	v_and_b32_e32 v4, 0x7f800000, v10
	v_cmp_ne_u32_e64 s[18:19], s60, v4
                                        ; implicit-def: $vgpr24
	s_and_saveexec_b64 s[46:47], s[18:19]
	s_xor_b64 s[18:19], exec, s[46:47]
; %bb.489:                              ;   in Loop: Header=BB2_480 Depth=2
	v_bfe_u32 v4, v10, 16, 1
	v_add3_u32 v24, v10, v4, s61
                                        ; implicit-def: $vgpr10_vgpr11
; %bb.490:                              ;   in Loop: Header=BB2_480 Depth=2
	s_andn2_saveexec_b64 s[46:47], s[18:19]
; %bb.491:                              ;   in Loop: Header=BB2_480 Depth=2
	v_or_b32_e32 v4, 0x10000, v10
	v_cmp_eq_u32_sdwa s[18:19], v10, v51 src0_sel:WORD_0 src1_sel:DWORD
	v_cndmask_b32_e64 v24, v4, v10, s[18:19]
; %bb.492:                              ;   in Loop: Header=BB2_480 Depth=2
	s_or_b64 exec, exec, s[46:47]
	v_and_b32_e32 v4, 0xffff0000, v3
	v_and_b32_e32 v6, 0xffff0000, v15
	v_pk_add_f32 v[10:11], v[4:5], v[6:7] op_sel_hi:[0,1]
	v_and_b32_e32 v3, 0x7f800000, v10
	v_cmp_ne_u32_e64 s[18:19], s60, v3
                                        ; implicit-def: $vgpr15
	s_and_saveexec_b64 s[46:47], s[18:19]
	s_xor_b64 s[18:19], exec, s[46:47]
; %bb.493:                              ;   in Loop: Header=BB2_480 Depth=2
	v_bfe_u32 v3, v10, 16, 1
	v_add3_u32 v15, v10, v3, s61
                                        ; implicit-def: $vgpr10_vgpr11
; %bb.494:                              ;   in Loop: Header=BB2_480 Depth=2
	s_andn2_saveexec_b64 s[46:47], s[18:19]
; %bb.495:                              ;   in Loop: Header=BB2_480 Depth=2
	v_or_b32_e32 v3, 0x10000, v10
	v_cmp_eq_u32_sdwa s[18:19], v10, v51 src0_sel:WORD_0 src1_sel:DWORD
	v_cndmask_b32_e64 v15, v3, v10, s[18:19]
; %bb.496:                              ;   in Loop: Header=BB2_480 Depth=2
	s_or_b64 exec, exec, s[46:47]
	v_lshlrev_b32_e32 v4, 16, v12
	v_lshlrev_b32_e32 v6, 16, v16
	v_pk_add_f32 v[10:11], v[4:5], v[6:7] op_sel_hi:[0,1]
	v_and_b32_e32 v3, 0x7f800000, v10
	v_cmp_ne_u32_e64 s[18:19], s60, v3
                                        ; implicit-def: $vgpr25
	s_and_saveexec_b64 s[46:47], s[18:19]
	s_xor_b64 s[18:19], exec, s[46:47]
; %bb.497:                              ;   in Loop: Header=BB2_480 Depth=2
	v_bfe_u32 v3, v10, 16, 1
	v_add3_u32 v25, v10, v3, s61
                                        ; implicit-def: $vgpr10_vgpr11
; %bb.498:                              ;   in Loop: Header=BB2_480 Depth=2
	s_andn2_saveexec_b64 s[46:47], s[18:19]
; %bb.499:                              ;   in Loop: Header=BB2_480 Depth=2
	v_or_b32_e32 v3, 0x10000, v10
	v_cmp_eq_u32_sdwa s[18:19], v10, v51 src0_sel:WORD_0 src1_sel:DWORD
	v_cndmask_b32_e64 v25, v3, v10, s[18:19]
; %bb.500:                              ;   in Loop: Header=BB2_480 Depth=2
	s_or_b64 exec, exec, s[46:47]
	v_and_b32_e32 v4, 0xffff0000, v12
	v_and_b32_e32 v6, 0xffff0000, v16
	v_pk_add_f32 v[10:11], v[4:5], v[6:7] op_sel_hi:[0,1]
	v_and_b32_e32 v3, 0x7f800000, v10
	v_cmp_ne_u32_e64 s[18:19], s60, v3
                                        ; implicit-def: $vgpr12
	s_and_saveexec_b64 s[46:47], s[18:19]
	s_xor_b64 s[18:19], exec, s[46:47]
; %bb.501:                              ;   in Loop: Header=BB2_480 Depth=2
	v_bfe_u32 v3, v10, 16, 1
	v_add3_u32 v12, v10, v3, s61
                                        ; implicit-def: $vgpr10_vgpr11
; %bb.502:                              ;   in Loop: Header=BB2_480 Depth=2
	s_andn2_saveexec_b64 s[46:47], s[18:19]
; %bb.503:                              ;   in Loop: Header=BB2_480 Depth=2
	v_or_b32_e32 v3, 0x10000, v10
	v_cmp_eq_u32_sdwa s[18:19], v10, v51 src0_sel:WORD_0 src1_sel:DWORD
	v_cndmask_b32_e64 v12, v3, v10, s[18:19]
; %bb.504:                              ;   in Loop: Header=BB2_480 Depth=2
	s_or_b64 exec, exec, s[46:47]
	v_mov_b32_e32 v3, v17
	v_lshlrev_b32_e32 v4, 16, v13
	v_lshlrev_b32_e32 v6, 16, v3
	v_pk_add_f32 v[10:11], v[4:5], v[6:7] op_sel_hi:[0,1]
	v_and_b32_e32 v4, 0x7f800000, v10
	v_cmp_ne_u32_e64 s[18:19], s60, v4
                                        ; implicit-def: $vgpr16
	s_and_saveexec_b64 s[46:47], s[18:19]
	s_xor_b64 s[18:19], exec, s[46:47]
; %bb.505:                              ;   in Loop: Header=BB2_480 Depth=2
	v_bfe_u32 v4, v10, 16, 1
	v_add3_u32 v16, v10, v4, s61
                                        ; implicit-def: $vgpr10_vgpr11
; %bb.506:                              ;   in Loop: Header=BB2_480 Depth=2
	s_andn2_saveexec_b64 s[46:47], s[18:19]
; %bb.507:                              ;   in Loop: Header=BB2_480 Depth=2
	v_or_b32_e32 v4, 0x10000, v10
	v_cmp_eq_u32_sdwa s[18:19], v10, v51 src0_sel:WORD_0 src1_sel:DWORD
	v_cndmask_b32_e64 v16, v4, v10, s[18:19]
; %bb.508:                              ;   in Loop: Header=BB2_480 Depth=2
	s_or_b64 exec, exec, s[46:47]
	v_and_b32_e32 v4, 0xffff0000, v13
	v_and_b32_e32 v6, 0xffff0000, v3
	v_pk_add_f32 v[10:11], v[4:5], v[6:7] op_sel_hi:[0,1]
	v_and_b32_e32 v3, 0x7f800000, v10
	v_cmp_ne_u32_e64 s[18:19], s60, v3
                                        ; implicit-def: $vgpr3
	s_and_saveexec_b64 s[46:47], s[18:19]
	s_xor_b64 s[18:19], exec, s[46:47]
; %bb.509:                              ;   in Loop: Header=BB2_480 Depth=2
	v_bfe_u32 v3, v10, 16, 1
	v_add3_u32 v3, v10, v3, s61
                                        ; implicit-def: $vgpr10_vgpr11
; %bb.510:                              ;   in Loop: Header=BB2_480 Depth=2
	s_andn2_saveexec_b64 s[46:47], s[18:19]
	s_cbranch_execz .LBB2_479
; %bb.511:                              ;   in Loop: Header=BB2_480 Depth=2
	v_or_b32_e32 v3, 0x10000, v10
	v_cmp_eq_u32_sdwa s[18:19], v10, v51 src0_sel:WORD_0 src1_sel:DWORD
	v_cndmask_b32_e64 v3, v3, v10, s[18:19]
	s_branch .LBB2_479
.LBB2_512:                              ;   in Loop: Header=BB2_338 Depth=1
	s_or_b64 exec, exec, s[44:45]
.LBB2_513:                              ;   in Loop: Header=BB2_338 Depth=1
	s_or_b64 exec, exec, s[42:43]
	v_and_b32_e32 v11, 14, v50
	v_cndmask_b32_e32 v50, v46, v11, vcc
	v_cmp_ne_u32_e64 s[18:19], 0, v50
	s_mov_b64 s[42:43], 0
	v_mov_b32_e32 v3, 0
                                        ; implicit-def: $vgpr18
                                        ; implicit-def: $vgpr10
	s_and_saveexec_b64 s[44:45], s[18:19]
	s_cbranch_execz .LBB2_515
; %bb.514:                              ;   in Loop: Header=BB2_338 Depth=1
	v_sub_u32_e32 v3, v46, v11
	v_cndmask_b32_e32 v3, 0, v3, vcc
	v_cmp_lt_i32_e32 vcc, 0, v45
	v_cndmask_b32_e32 v4, 0, v30, vcc
	v_sub_u32_e32 v4, v4, v45
	v_lshl_add_u32 v18, v4, 6, v43
	v_ashrrev_i32_e32 v4, 31, v18
	v_lshrrev_b32_e32 v4, 26, v4
	v_add_u32_e32 v4, v18, v4
	s_mov_b64 s[42:43], exec
	v_add3_u32 v3, v44, v29, v3
	v_ashrrev_i32_e32 v10, 6, v4
.LBB2_515:                              ;   in Loop: Header=BB2_338 Depth=1
	s_or_b64 exec, exec, s[44:45]
	v_accvgpr_read_b32 v45, a5
	s_and_b64 s[42:43], s[42:43], exec
	v_accvgpr_read_b32 v44, a4
	v_accvgpr_read_b32 v25, a19
.LBB2_516:                              ;   in Loop: Header=BB2_338 Depth=1
	s_or_b64 exec, exec, s[40:41]
	s_and_saveexec_b64 s[18:19], s[42:43]
	s_cbranch_execz .LBB2_537
.LBB2_517:                              ;   in Loop: Header=BB2_338 Depth=1
	v_ashrrev_i32_e32 v4, 31, v50
	v_add_u32_sdwa v4, v50, v4 dst_sel:DWORD dst_unused:UNUSED_PAD src0_sel:DWORD src1_sel:BYTE_3
	v_ashrrev_i32_e32 v21, 8, v4
	v_sub_u32_e32 v19, v21, v10
	v_ashrrev_i32_e32 v4, 31, v18
	v_cmp_lt_i32_e32 vcc, 0, v19
	v_lshrrev_b32_e32 v20, 26, v4
	s_and_saveexec_b64 s[40:41], vcc
	s_cbranch_execz .LBB2_529
; %bb.518:                              ;   in Loop: Header=BB2_338 Depth=1
	v_add_u32_e32 v4, v18, v20
	v_and_b32_e32 v4, 0x7fffffc0, v4
	v_sub_u32_e32 v4, v18, v4
	s_trap 2
	v_lshlrev_b32_e32 v8, 1, v4
	ds_read_b128 v[4:7], v0
	v_lshlrev_b32_e32 v9, 8, v10
	v_add3_u32 v14, v8, v3, v9
	ds_read_b64 v[8:9], v0
	v_ashrrev_i32_e32 v15, 31, v14
	s_waitcnt lgkmcnt(0)
	v_add_co_u32_e32 v10, vcc, v4, v14
	v_addc_co_u32_e32 v11, vcc, v5, v15, vcc
	v_add_co_u32_e32 v12, vcc, v6, v14
	v_addc_co_u32_e32 v13, vcc, v7, v15, vcc
	s_waitcnt lgkmcnt(0)
	v_add_co_u32_e32 v14, vcc, v8, v14
	v_addc_co_u32_e32 v15, vcc, v9, v15, vcc
	s_mov_b64 s[42:43], 0
	s_branch .LBB2_520
.LBB2_519:                              ;   in Loop: Header=BB2_520 Depth=2
	s_or_b64 exec, exec, s[44:45]
	v_add_co_u32_e32 v10, vcc, v10, v55
	v_addc_co_u32_e32 v11, vcc, v11, v60, vcc
	v_add_co_u32_e32 v12, vcc, v12, v55
	v_addc_co_u32_e32 v13, vcc, v13, v60, vcc
	v_sub_u32_e32 v19, v19, v30
	v_cmp_gt_i32_e32 vcc, 1, v19
	flat_store_short_d16_hi v[14:15], v22 glc slc
	flat_store_short_d16_hi v[14:15], v23 offset:128 glc slc
	s_or_b64 s[42:43], vcc, s[42:43]
	v_add_co_u32_e32 v14, vcc, v14, v55
	v_addc_co_u32_e32 v15, vcc, v15, v60, vcc
	s_andn2_b64 exec, exec, s[42:43]
	s_cbranch_execz .LBB2_528
.LBB2_520:                              ;   Parent Loop BB2_338 Depth=1
                                        ; =>  This Inner Loop Header: Depth=2
	flat_load_ushort v4, v[12:13] glc slc
	flat_load_ushort v5, v[10:11] glc slc
	flat_load_ushort v23, v[10:11] offset:128 glc slc
	flat_load_ushort v24, v[12:13] offset:128 glc slc
                                        ; implicit-def: $vgpr22
	s_waitcnt vmcnt(0) lgkmcnt(0)
	v_lshlrev_b32_e32 v4, 16, v4
	v_lshlrev_b32_e32 v6, 16, v5
	v_pk_add_f32 v[16:17], v[4:5], v[6:7] op_sel_hi:[0,1]
	v_and_b32_e32 v4, 0x7f800000, v16
	v_cmp_ne_u32_e32 vcc, s60, v4
	s_and_saveexec_b64 s[44:45], vcc
	s_xor_b64 vcc, exec, s[44:45]
; %bb.521:                              ;   in Loop: Header=BB2_520 Depth=2
	v_bfe_u32 v4, v16, 16, 1
	v_add3_u32 v22, v16, v4, s61
                                        ; implicit-def: $vgpr16_vgpr17
; %bb.522:                              ;   in Loop: Header=BB2_520 Depth=2
	s_andn2_saveexec_b64 s[44:45], vcc
; %bb.523:                              ;   in Loop: Header=BB2_520 Depth=2
	v_or_b32_e32 v4, 0x10000, v16
	v_cmp_eq_u32_sdwa vcc, v16, v51 src0_sel:WORD_0 src1_sel:DWORD
	v_cndmask_b32_e32 v22, v4, v16, vcc
; %bb.524:                              ;   in Loop: Header=BB2_520 Depth=2
	s_or_b64 exec, exec, s[44:45]
	v_lshlrev_b32_e32 v4, 16, v24
	v_lshlrev_b32_e32 v6, 16, v23
	v_pk_add_f32 v[16:17], v[4:5], v[6:7] op_sel_hi:[0,1]
	v_and_b32_e32 v4, 0x7f800000, v16
	v_cmp_ne_u32_e32 vcc, s60, v4
                                        ; implicit-def: $vgpr23
	s_and_saveexec_b64 s[44:45], vcc
	s_xor_b64 vcc, exec, s[44:45]
; %bb.525:                              ;   in Loop: Header=BB2_520 Depth=2
	v_bfe_u32 v4, v16, 16, 1
	v_add3_u32 v23, v16, v4, s61
                                        ; implicit-def: $vgpr16_vgpr17
; %bb.526:                              ;   in Loop: Header=BB2_520 Depth=2
	s_andn2_saveexec_b64 s[44:45], vcc
	s_cbranch_execz .LBB2_519
; %bb.527:                              ;   in Loop: Header=BB2_520 Depth=2
	v_or_b32_e32 v4, 0x10000, v16
	v_cmp_eq_u32_sdwa vcc, v16, v51 src0_sel:WORD_0 src1_sel:DWORD
	v_cndmask_b32_e32 v23, v4, v16, vcc
	s_branch .LBB2_519
.LBB2_528:                              ;   in Loop: Header=BB2_338 Depth=1
	s_or_b64 exec, exec, s[42:43]
.LBB2_529:                              ;   in Loop: Header=BB2_338 Depth=1
	s_or_b64 exec, exec, s[40:41]
	v_lshlrev_b32_e32 v10, 8, v21
	v_cmp_ne_u32_e32 vcc, v50, v10
	s_and_b64 exec, exec, vcc
	s_cbranch_execz .LBB2_537
; %bb.530:                              ;   in Loop: Header=BB2_338 Depth=1
	v_add_u32_e32 v4, v18, v20
	v_and_b32_e32 v4, 0xffffffc0, v4
	v_sub_u32_e32 v4, v18, v4
	v_lshlrev_b32_e32 v5, 6, v19
	v_sub_u32_e32 v4, v4, v5
	v_ashrrev_i32_e32 v5, 31, v4
	v_lshrrev_b32_e32 v5, 26, v5
	v_add_u32_e32 v5, v4, v5
	v_and_b32_e32 v6, 0x7fffffc0, v5
	v_sub_u32_e32 v4, v4, v6
	v_lshlrev_b32_e32 v5, 1, v5
	v_and_b32_e32 v5, 0xffffff80, v5
	v_lshlrev_b32_e32 v4, 1, v4
	v_add3_u32 v10, v5, v4, v10
	v_sub_u32_e32 v18, v50, v10
	v_cmp_lt_i32_e32 vcc, 1, v18
	s_and_b64 exec, exec, vcc
	s_cbranch_execz .LBB2_537
; %bb.531:                              ;   in Loop: Header=BB2_338 Depth=1
	s_trap 2
	ds_read_b128 v[4:7], v0
	ds_read_b64 v[8:9], v0
	v_add_u32_e32 v3, v10, v3
	v_ashrrev_i32_e32 v15, 31, v3
	s_mov_b64 s[40:41], 0
	s_waitcnt lgkmcnt(0)
	v_add_co_u32_e32 v10, vcc, v4, v3
	v_addc_co_u32_e32 v11, vcc, v5, v15, vcc
	v_add_co_u32_e32 v12, vcc, v6, v3
	v_addc_co_u32_e32 v13, vcc, v7, v15, vcc
	v_add_co_u32_e32 v14, vcc, v8, v3
	v_addc_co_u32_e32 v15, vcc, v9, v15, vcc
	s_branch .LBB2_533
.LBB2_532:                              ;   in Loop: Header=BB2_533 Depth=2
	s_or_b64 exec, exec, s[42:43]
	v_add_co_u32_e32 v10, vcc, v10, v61
	v_addc_co_u32_e32 v11, vcc, v11, v2, vcc
	v_add_co_u32_e32 v12, vcc, v12, v61
	v_addc_co_u32_e32 v13, vcc, v13, v2, vcc
	v_sub_u32_e32 v18, v18, v25
	v_cmp_gt_i32_e32 vcc, 2, v18
	flat_store_short_d16_hi v[14:15], v3 glc slc
	s_or_b64 s[40:41], vcc, s[40:41]
	v_add_co_u32_e32 v14, vcc, v14, v61
	v_addc_co_u32_e32 v15, vcc, v15, v2, vcc
	s_andn2_b64 exec, exec, s[40:41]
	s_cbranch_execz .LBB2_537
.LBB2_533:                              ;   Parent Loop BB2_338 Depth=1
                                        ; =>  This Inner Loop Header: Depth=2
	flat_load_ushort v3, v[12:13] glc slc
	flat_load_ushort v5, v[10:11] glc slc
	s_waitcnt vmcnt(0) lgkmcnt(0)
	v_lshlrev_b32_e32 v4, 16, v3
	v_lshlrev_b32_e32 v6, 16, v5
	v_pk_add_f32 v[16:17], v[4:5], v[6:7] op_sel_hi:[0,1]
	v_and_b32_e32 v3, 0x7f800000, v16
	v_cmp_ne_u32_e32 vcc, s60, v3
                                        ; implicit-def: $vgpr3
	s_and_saveexec_b64 s[42:43], vcc
	s_xor_b64 vcc, exec, s[42:43]
; %bb.534:                              ;   in Loop: Header=BB2_533 Depth=2
	v_bfe_u32 v3, v16, 16, 1
	v_add3_u32 v3, v16, v3, s61
                                        ; implicit-def: $vgpr16_vgpr17
; %bb.535:                              ;   in Loop: Header=BB2_533 Depth=2
	s_andn2_saveexec_b64 s[42:43], vcc
	s_cbranch_execz .LBB2_532
; %bb.536:                              ;   in Loop: Header=BB2_533 Depth=2
	v_or_b32_e32 v3, 0x10000, v16
	v_cmp_eq_u32_sdwa vcc, v16, v51 src0_sel:WORD_0 src1_sel:DWORD
	v_cndmask_b32_e32 v3, v3, v16, vcc
	s_branch .LBB2_532
.LBB2_537:                              ;   in Loop: Header=BB2_338 Depth=1
	s_or_b64 exec, exec, s[18:19]
	v_cmp_ne_u32_e64 s[18:19], 0, v1
.LBB2_538:                              ;   in Loop: Header=BB2_338 Depth=1
	s_and_saveexec_b64 s[40:41], s[10:11]
	s_cbranch_execz .LBB2_557
; %bb.539:                              ;   in Loop: Header=BB2_338 Depth=1
	s_and_saveexec_b64 vcc, s[28:29]
	s_xor_b64 s[42:43], exec, vcc
	s_cbranch_execz .LBB2_554
; %bb.540:                              ;   in Loop: Header=BB2_338 Depth=1
	s_and_saveexec_b64 s[44:45], s[12:13]
	s_cbranch_execz .LBB2_553
; %bb.541:                              ;   in Loop: Header=BB2_338 Depth=1
	s_mov_b64 s[48:49], exec
	v_mbcnt_lo_u32_b32 v1, s48, 0
	v_mbcnt_hi_u32_b32 v1, s49, v1
	v_cmp_eq_u32_e32 vcc, 0, v1
	s_waitcnt vmcnt(0) lgkmcnt(0)
	buffer_wbinvl1_vol
	s_and_saveexec_b64 s[46:47], vcc
	s_cbranch_execz .LBB2_543
; %bb.542:                              ;   in Loop: Header=BB2_338 Depth=1
	s_bcnt1_i32_b64 vcc_lo, s[48:49]
	v_mov_b32_e32 v50, vcc_lo
	ds_add_u64 v0, v[50:51]
	s_trap 2
.LBB2_543:                              ;   in Loop: Header=BB2_338 Depth=1
	s_or_b64 exec, exec, s[46:47]
	s_trap 2
	ds_read_b64 v[4:5], v0
	v_add_co_u32_e32 v38, vcc, v38, v30
	v_addc_co_u32_e32 v39, vcc, 0, v39, vcc
	s_waitcnt lgkmcnt(0)
	v_cmp_lt_u64_e32 vcc, v[4:5], v[38:39]
	s_and_saveexec_b64 s[46:47], vcc
	s_cbranch_execz .LBB2_552
; %bb.544:                              ;   in Loop: Header=BB2_338 Depth=1
	s_mov_b32 s64, 0
	s_mov_b64 s[48:49], 0
                                        ; implicit-def: $sgpr50_sgpr51
                                        ; implicit-def: $sgpr52_sgpr53
	s_branch .LBB2_546
.LBB2_545:                              ;   in Loop: Header=BB2_546 Depth=2
	s_or_b64 exec, exec, s[56:57]
	s_and_b64 vcc, exec, vcc
	s_or_b64 s[48:49], vcc, s[48:49]
	s_andn2_b64 vcc, s[50:51], exec
	s_and_b64 s[50:51], s[52:53], exec
	s_or_b64 s[50:51], vcc, s[50:51]
	s_andn2_b64 exec, exec, s[48:49]
	s_cbranch_execz .LBB2_550
.LBB2_546:                              ;   Parent Loop BB2_338 Depth=1
                                        ; =>  This Inner Loop Header: Depth=2
	s_add_i32 s64, s64, 1
	s_cmpk_lg_i32 s64, 0x2710
	s_cselect_b64 s[54:55], -1, 0
	s_and_b64 vcc, exec, s[54:55]
                                        ; implicit-def: $sgpr56_sgpr57
	s_cbranch_vccnz .LBB2_548
; %bb.547:                              ;   in Loop: Header=BB2_546 Depth=2
	s_trap 2
	ds_read_b64 v[4:5], v0
	s_andn2_b64 s[54:55], s[54:55], exec
	s_mov_b32 s64, 0
	s_mov_b64 s[56:57], -1
	s_waitcnt lgkmcnt(0)
	flat_load_dword v1, v[4:5] glc
	s_waitcnt vmcnt(0) lgkmcnt(0)
	buffer_invl2
	buffer_wbinvl1_vol
	v_cmp_eq_u32_e32 vcc, 0, v1
	s_and_b64 vcc, vcc, exec
	s_or_b64 s[54:55], s[54:55], vcc
.LBB2_548:                              ;   in Loop: Header=BB2_546 Depth=2
	s_andn2_b64 s[52:53], s[52:53], exec
	s_and_b64 s[56:57], s[56:57], exec
	s_mov_b64 vcc, -1
	s_or_b64 s[52:53], s[52:53], s[56:57]
	s_and_saveexec_b64 s[56:57], s[54:55]
	s_cbranch_execz .LBB2_545
; %bb.549:                              ;   in Loop: Header=BB2_546 Depth=2
	s_sleep 1
	s_trap 2
	ds_read_b64 v[4:5], v0
	s_andn2_b64 s[52:53], s[52:53], exec
	s_waitcnt lgkmcnt(0)
	v_cmp_ge_u64_e32 vcc, v[4:5], v[38:39]
	s_orn2_b64 vcc, vcc, exec
	s_branch .LBB2_545
.LBB2_550:                              ;   in Loop: Header=BB2_338 Depth=1
	s_or_b64 exec, exec, s[48:49]
	s_and_saveexec_b64 vcc, s[50:51]
	s_xor_b64 vcc, exec, vcc
	s_cbranch_execz .LBB2_552
; %bb.551:                              ;   in Loop: Header=BB2_338 Depth=1
	v_mov_b32_e32 v1, 1
	ds_write_b32 v0, v1
	s_trap 2
.LBB2_552:                              ;   in Loop: Header=BB2_338 Depth=1
	s_or_b64 exec, exec, s[46:47]
	;;#ASMSTART
	s_wakeup
	;;#ASMEND
.LBB2_553:                              ;   in Loop: Header=BB2_338 Depth=1
	s_or_b64 exec, exec, s[44:45]
.LBB2_554:                              ;   in Loop: Header=BB2_338 Depth=1
	s_andn2_saveexec_b64 vcc, s[42:43]
	s_cbranch_execz .LBB2_556
; %bb.555:                              ;   in Loop: Header=BB2_338 Depth=1
	s_waitcnt vmcnt(0) lgkmcnt(0)
	buffer_wbinvl1_vol
	s_barrier
.LBB2_556:                              ;   in Loop: Header=BB2_338 Depth=1
	s_or_b64 exec, exec, vcc
.LBB2_557:                              ;   in Loop: Header=BB2_338 Depth=1
	s_or_b64 exec, exec, s[40:41]
	v_and_b32_e32 v1, 16, v54
	v_cmp_ne_u32_e32 vcc, 0, v1
	s_and_b64 vcc, vcc, s[18:19]
	s_and_saveexec_b64 s[18:19], vcc
	s_cbranch_execz .LBB2_559
; %bb.558:                              ;   in Loop: Header=BB2_338 Depth=1
	s_waitcnt vmcnt(0) lgkmcnt(0)
	buffer_wbinvl1_vol
.LBB2_559:                              ;   in Loop: Header=BB2_338 Depth=1
	s_or_b64 exec, exec, s[18:19]
	v_and_b32_e32 v1, 32, v54
	v_cmp_ne_u32_e32 vcc, 0, v1
	s_and_saveexec_b64 s[18:19], vcc
	s_cbranch_execz .LBB2_561
; %bb.560:                              ;   in Loop: Header=BB2_338 Depth=1
	v_accvgpr_read_b32 v4, a10
	v_accvgpr_read_b32 v6, a12
	;; [unrolled: 1-line block ×3, first 2 shown]
	v_add_co_u32_e32 v6, vcc, 1, v6
	v_addc_co_u32_e32 v7, vcc, 0, v7, vcc
	v_accvgpr_read_b32 v5, a11
	v_accvgpr_write_b32 a13, v7
	v_accvgpr_write_b32 a12, v6
	;; [unrolled: 1-line block ×4, first 2 shown]
	flat_store_dwordx2 v[32:33], v[6:7]
.LBB2_561:                              ;   in Loop: Header=BB2_338 Depth=1
	s_or_b64 exec, exec, s[18:19]
	v_mov_b32_e32 v1, v28
.LBB2_562:                              ;   in Loop: Header=BB2_338 Depth=1
	s_or_b64 exec, exec, s[38:39]
	s_and_saveexec_b64 s[38:39], s[36:37]
	s_cbranch_execz .LBB2_337
; %bb.563:                              ;   in Loop: Header=BB2_338 Depth=1
	v_and_b32_e32 v3, 4, v54
	v_cmp_ne_u32_e32 vcc, 0, v3
	s_mov_b64 s[36:37], -1
	s_and_saveexec_b64 s[18:19], vcc
	s_cbranch_execnz .LBB2_566
; %bb.564:                              ;   in Loop: Header=BB2_338 Depth=1
	s_or_b64 exec, exec, s[18:19]
	s_xor_b64 s[18:19], s[36:37], -1
	s_and_saveexec_b64 s[36:37], s[18:19]
	s_cbranch_execnz .LBB2_577
.LBB2_565:                              ;   in Loop: Header=BB2_338 Depth=1
	s_or_b64 exec, exec, s[36:37]
	s_and_saveexec_b64 s[18:19], s[10:11]
	s_cbranch_execnz .LBB2_586
	s_branch .LBB2_604
.LBB2_566:                              ;   in Loop: Header=BB2_338 Depth=1
	v_accvgpr_read_b32 v4, a10
	v_accvgpr_read_b32 v6, a12
	;; [unrolled: 1-line block ×3, first 2 shown]
	v_add_co_u32_e32 v10, vcc, 1, v6
	v_addc_co_u32_e32 v11, vcc, 0, v7, vcc
	v_cmp_lt_u64_e32 vcc, v[36:37], v[10:11]
	v_mov_b32_e32 v3, 1
	v_accvgpr_read_b32 v5, a11
	s_and_saveexec_b64 s[36:37], vcc
	s_cbranch_execz .LBB2_576
; %bb.567:                              ;   in Loop: Header=BB2_338 Depth=1
	s_mov_b64 s[40:41], 0
	v_mov_b32_e32 v3, 0
                                        ; implicit-def: $sgpr42_sgpr43
	s_branch .LBB2_571
.LBB2_568:                              ;   in Loop: Header=BB2_571 Depth=2
	s_or_b64 exec, exec, s[50:51]
	v_mov_b32_e32 v12, 0
	s_orn2_b64 s[48:49], s[48:49], exec
.LBB2_569:                              ;   in Loop: Header=BB2_571 Depth=2
	s_or_b64 exec, exec, s[46:47]
	s_andn2_b64 vcc, s[42:43], exec
	s_and_b64 s[42:43], s[48:49], exec
	s_or_b64 s[42:43], vcc, s[42:43]
	v_mov_b32_e32 v3, v12
.LBB2_570:                              ;   in Loop: Header=BB2_571 Depth=2
	s_or_b64 exec, exec, s[44:45]
	s_waitcnt vmcnt(0) lgkmcnt(0)
	v_cmp_ge_u64_e32 vcc, v[36:37], v[10:11]
	s_xor_b64 s[44:45], s[42:43], -1
	s_or_b64 vcc, s[44:45], vcc
	s_and_b64 vcc, exec, vcc
	s_or_b64 s[40:41], vcc, s[40:41]
	s_andn2_b64 exec, exec, s[40:41]
	s_cbranch_execz .LBB2_575
.LBB2_571:                              ;   Parent Loop BB2_338 Depth=1
                                        ; =>  This Inner Loop Header: Depth=2
	s_sleep 1
	flat_load_dwordx2 v[36:37], v[32:33] glc
	v_and_b32_e32 v4, 64, v54
	v_cmp_eq_u32_e32 vcc, 0, v4
	s_andn2_b64 s[42:43], s[42:43], exec
	s_and_saveexec_b64 s[44:45], vcc
	s_cbranch_execz .LBB2_570
; %bb.572:                              ;   in Loop: Header=BB2_571 Depth=2
	v_add_u32_e32 v12, 1, v3
	v_cmp_lt_i32_e32 vcc, s59, v3
	s_mov_b64 s[48:49], -1
	s_and_saveexec_b64 s[46:47], vcc
	s_cbranch_execz .LBB2_569
; %bb.573:                              ;   in Loop: Header=BB2_571 Depth=2
	s_trap 2
	ds_read_b64 v[4:5], v0
	s_waitcnt vmcnt(0) lgkmcnt(0)
	flat_load_dword v3, v[4:5] glc
	s_waitcnt vmcnt(0) lgkmcnt(0)
	buffer_invl2
	buffer_wbinvl1_vol
	v_cmp_ne_u32_e32 vcc, 0, v3
	s_and_saveexec_b64 s[50:51], vcc
	s_cbranch_execz .LBB2_568
; %bb.574:                              ;   in Loop: Header=BB2_571 Depth=2
	v_or_b32_e32 v54, 64, v54
	s_xor_b64 s[48:49], exec, -1
	ds_write_b32 v0, v3
	s_trap 2
	s_branch .LBB2_568
.LBB2_575:                              ;   in Loop: Header=BB2_338 Depth=1
	s_or_b64 exec, exec, s[40:41]
	v_and_b32_e32 v3, 4, v54
.LBB2_576:                              ;   in Loop: Header=BB2_338 Depth=1
	s_or_b64 exec, exec, s[36:37]
	v_cmp_eq_u32_e32 vcc, 0, v3
	s_orn2_b64 s[36:37], vcc, exec
	;;#ASMSTART
	s_wakeup
	;;#ASMEND
	s_or_b64 exec, exec, s[18:19]
	s_xor_b64 s[18:19], s[36:37], -1
	s_and_saveexec_b64 s[36:37], s[18:19]
	s_cbranch_execz .LBB2_565
.LBB2_577:                              ;   in Loop: Header=BB2_338 Depth=1
	v_accvgpr_read_b32 v4, a10
	v_and_b32_e32 v3, 0x100, v54
	v_accvgpr_read_b32 v6, a12
	v_cmp_ne_u32_e32 vcc, 0, v3
	v_and_b32_e32 v3, 7, v6
	s_mov_b64 s[18:19], -1
	v_accvgpr_read_b32 v5, a11
	v_accvgpr_read_b32 v7, a13
                                        ; implicit-def: $vgpr10_vgpr11
	s_and_saveexec_b64 s[40:41], vcc
	s_cbranch_execz .LBB2_581
; %bb.578:                              ;   in Loop: Header=BB2_338 Depth=1
	v_accvgpr_read_b32 v4, a10
	v_accvgpr_read_b32 v5, a11
	v_mad_u64_u32 v[12:13], s[18:19], v3, 24, v[4:5]
	flat_load_dword v4, v[12:13]
	v_accvgpr_read_b32 v6, a12
	v_accvgpr_read_b32 v7, a13
                                        ; implicit-def: $vgpr10_vgpr11
	s_waitcnt vmcnt(0) lgkmcnt(0)
	v_cmp_ne_u32_e32 vcc, 1, v4
	v_cmp_eq_u32_e64 s[18:19], 1, v4
	s_and_saveexec_b64 s[42:43], s[18:19]
	s_cbranch_execz .LBB2_580
; %bb.579:                              ;   in Loop: Header=BB2_338 Depth=1
	flat_load_dword v4, v[12:13] offset:4 glc
	s_waitcnt vmcnt(0) lgkmcnt(0)
	v_ashrrev_i32_e32 v5, 31, v4
	v_lshrrev_b64 v[10:11], 1, v[4:5]
.LBB2_580:                              ;   in Loop: Header=BB2_338 Depth=1
	s_or_b64 exec, exec, s[42:43]
	s_orn2_b64 s[18:19], vcc, exec
.LBB2_581:                              ;   in Loop: Header=BB2_338 Depth=1
	s_or_b64 exec, exec, s[40:41]
	s_and_saveexec_b64 vcc, s[18:19]
; %bb.582:                              ;   in Loop: Header=BB2_338 Depth=1
	v_accvgpr_read_b32 v4, a14
	v_mad_i64_i32 v[10:11], s[18:19], v3, v4, 0
; %bb.583:                              ;   in Loop: Header=BB2_338 Depth=1
	s_or_b64 exec, exec, vcc
	v_lshlrev_b64 v[4:5], 1, v[10:11]
	v_add_co_u32_e32 v4, vcc, v34, v4
	v_addc_co_u32_e32 v5, vcc, v35, v5, vcc
	v_and_b32_e32 v3, 0x2000, v54
	v_cmp_ne_u32_e32 vcc, 0, v3
	ds_write_b64 v0, v[4:5] offset:728
	s_and_saveexec_b64 s[18:19], vcc
	s_cbranch_execz .LBB2_585
; %bb.584:                              ;   in Loop: Header=BB2_338 Depth=1
	ds_read_b64 v[4:5], v0 offset:584
	s_waitcnt lgkmcnt(0)
	v_add_co_u32_e32 v4, vcc, 1, v4
	v_addc_co_u32_e32 v5, vcc, 0, v5, vcc
	ds_write_b64 v0, v[4:5] offset:584
.LBB2_585:                              ;   in Loop: Header=BB2_338 Depth=1
	s_or_b64 exec, exec, s[18:19]
	v_accvgpr_read_b32 v4, a10
	v_accvgpr_read_b32 v6, a12
	;; [unrolled: 1-line block ×3, first 2 shown]
	v_add_co_u32_e32 v6, vcc, 1, v6
	v_addc_co_u32_e32 v7, vcc, 0, v7, vcc
	v_accvgpr_read_b32 v5, a11
	v_accvgpr_write_b32 a13, v7
	v_accvgpr_write_b32 a12, v6
	;; [unrolled: 1-line block ×4, first 2 shown]
	s_or_b64 exec, exec, s[36:37]
	s_and_saveexec_b64 s[18:19], s[10:11]
	s_cbranch_execz .LBB2_604
.LBB2_586:                              ;   in Loop: Header=BB2_338 Depth=1
	s_and_saveexec_b64 vcc, s[28:29]
	s_xor_b64 s[36:37], exec, vcc
	s_cbranch_execz .LBB2_601
; %bb.587:                              ;   in Loop: Header=BB2_338 Depth=1
	s_and_saveexec_b64 s[40:41], s[12:13]
	s_cbranch_execz .LBB2_600
; %bb.588:                              ;   in Loop: Header=BB2_338 Depth=1
	s_mov_b64 s[44:45], exec
	v_mbcnt_lo_u32_b32 v3, s44, 0
	v_mbcnt_hi_u32_b32 v3, s45, v3
	v_cmp_eq_u32_e32 vcc, 0, v3
	s_waitcnt vmcnt(0) lgkmcnt(0)
	buffer_wbinvl1_vol
	s_and_saveexec_b64 s[42:43], vcc
	s_cbranch_execz .LBB2_590
; %bb.589:                              ;   in Loop: Header=BB2_338 Depth=1
	s_bcnt1_i32_b64 vcc_lo, s[44:45]
	v_mov_b32_e32 v50, vcc_lo
	ds_add_u64 v0, v[50:51]
	s_trap 2
.LBB2_590:                              ;   in Loop: Header=BB2_338 Depth=1
	s_or_b64 exec, exec, s[42:43]
	s_trap 2
	ds_read_b64 v[4:5], v0
	v_add_co_u32_e32 v38, vcc, v38, v30
	v_addc_co_u32_e32 v39, vcc, 0, v39, vcc
	s_waitcnt lgkmcnt(0)
	v_cmp_lt_u64_e32 vcc, v[4:5], v[38:39]
	s_and_saveexec_b64 s[42:43], vcc
	s_cbranch_execz .LBB2_599
; %bb.591:                              ;   in Loop: Header=BB2_338 Depth=1
	s_mov_b32 s54, 0
	s_mov_b64 s[44:45], 0
                                        ; implicit-def: $sgpr46_sgpr47
                                        ; implicit-def: $sgpr48_sgpr49
	s_branch .LBB2_593
.LBB2_592:                              ;   in Loop: Header=BB2_593 Depth=2
	s_or_b64 exec, exec, s[52:53]
	s_and_b64 vcc, exec, vcc
	s_or_b64 s[44:45], vcc, s[44:45]
	s_andn2_b64 vcc, s[46:47], exec
	s_and_b64 s[46:47], s[48:49], exec
	s_or_b64 s[46:47], vcc, s[46:47]
	s_andn2_b64 exec, exec, s[44:45]
	s_cbranch_execz .LBB2_597
.LBB2_593:                              ;   Parent Loop BB2_338 Depth=1
                                        ; =>  This Inner Loop Header: Depth=2
	s_add_i32 s54, s54, 1
	s_cmpk_lg_i32 s54, 0x2710
	s_cselect_b64 s[50:51], -1, 0
	s_and_b64 vcc, exec, s[50:51]
                                        ; implicit-def: $sgpr52_sgpr53
	s_cbranch_vccnz .LBB2_595
; %bb.594:                              ;   in Loop: Header=BB2_593 Depth=2
	s_trap 2
	ds_read_b64 v[4:5], v0
	s_andn2_b64 s[50:51], s[50:51], exec
	s_mov_b32 s54, 0
	s_mov_b64 s[52:53], -1
	s_waitcnt lgkmcnt(0)
	flat_load_dword v3, v[4:5] glc
	s_waitcnt vmcnt(0) lgkmcnt(0)
	buffer_invl2
	buffer_wbinvl1_vol
	v_cmp_eq_u32_e32 vcc, 0, v3
	s_and_b64 vcc, vcc, exec
	s_or_b64 s[50:51], s[50:51], vcc
.LBB2_595:                              ;   in Loop: Header=BB2_593 Depth=2
	s_andn2_b64 s[48:49], s[48:49], exec
	s_and_b64 s[52:53], s[52:53], exec
	s_mov_b64 vcc, -1
	s_or_b64 s[48:49], s[48:49], s[52:53]
	s_and_saveexec_b64 s[52:53], s[50:51]
	s_cbranch_execz .LBB2_592
; %bb.596:                              ;   in Loop: Header=BB2_593 Depth=2
	s_sleep 1
	s_trap 2
	ds_read_b64 v[4:5], v0
	s_andn2_b64 s[48:49], s[48:49], exec
	s_waitcnt lgkmcnt(0)
	v_cmp_ge_u64_e32 vcc, v[4:5], v[38:39]
	s_orn2_b64 vcc, vcc, exec
	s_branch .LBB2_592
.LBB2_597:                              ;   in Loop: Header=BB2_338 Depth=1
	s_or_b64 exec, exec, s[44:45]
	s_and_saveexec_b64 vcc, s[46:47]
	s_xor_b64 vcc, exec, vcc
	s_cbranch_execz .LBB2_599
; %bb.598:                              ;   in Loop: Header=BB2_338 Depth=1
	v_mov_b32_e32 v3, 1
	ds_write_b32 v0, v3
	s_trap 2
.LBB2_599:                              ;   in Loop: Header=BB2_338 Depth=1
	s_or_b64 exec, exec, s[42:43]
	;;#ASMSTART
	s_wakeup
	;;#ASMEND
.LBB2_600:                              ;   in Loop: Header=BB2_338 Depth=1
	s_or_b64 exec, exec, s[40:41]
.LBB2_601:                              ;   in Loop: Header=BB2_338 Depth=1
	s_andn2_saveexec_b64 vcc, s[36:37]
	s_cbranch_execz .LBB2_603
; %bb.602:                              ;   in Loop: Header=BB2_338 Depth=1
	s_waitcnt vmcnt(0) lgkmcnt(0)
	buffer_wbinvl1_vol
	s_barrier
.LBB2_603:                              ;   in Loop: Header=BB2_338 Depth=1
	s_or_b64 exec, exec, vcc
.LBB2_604:                              ;   in Loop: Header=BB2_338 Depth=1
	s_or_b64 exec, exec, s[18:19]
	s_trap 2
	ds_read_b32 v3, v0
	v_sub_u32_e32 v1, v42, v1
	v_min_i32_e32 v1, v28, v1
	v_cmp_lt_i32_e32 vcc, 0, v1
	v_and_b32_e32 v1, 16, v54
	s_waitcnt lgkmcnt(0)
	v_readfirstlane_b32 s18, v3
	s_cmp_eq_u32 s18, 0
	s_cselect_b64 s[18:19], -1, 0
	s_and_b64 s[18:19], vcc, s[18:19]
	v_cmp_ne_u32_e32 vcc, 0, v1
	s_and_b64 vcc, vcc, s[18:19]
	s_and_saveexec_b64 s[18:19], vcc
	s_cbranch_execz .LBB2_606
; %bb.605:                              ;   in Loop: Header=BB2_338 Depth=1
	s_waitcnt vmcnt(0)
	buffer_wbinvl1_vol
.LBB2_606:                              ;   in Loop: Header=BB2_338 Depth=1
	s_or_b64 exec, exec, s[18:19]
	v_and_b32_e32 v1, 32, v54
	v_cmp_ne_u32_e32 vcc, 0, v1
	s_and_saveexec_b64 s[18:19], vcc
	s_cbranch_execz .LBB2_336
; %bb.607:                              ;   in Loop: Header=BB2_338 Depth=1
	v_accvgpr_read_b32 v4, a10
	v_accvgpr_read_b32 v6, a12
	;; [unrolled: 1-line block ×3, first 2 shown]
	v_add_co_u32_e32 v6, vcc, 1, v6
	v_addc_co_u32_e32 v7, vcc, 0, v7, vcc
	v_accvgpr_read_b32 v5, a11
	v_accvgpr_write_b32 a13, v7
	v_accvgpr_write_b32 a12, v6
	;; [unrolled: 1-line block ×4, first 2 shown]
	flat_store_dwordx2 v[32:33], v[6:7]
	s_branch .LBB2_336
.LBB2_608:
	s_or_b64 exec, exec, s[30:31]
	v_accvgpr_read_b32 v61, a9
	v_accvgpr_read_b32 v6, a10
	;; [unrolled: 1-line block ×9, first 2 shown]
.LBB2_609:
	s_or_b64 exec, exec, s[22:23]
.LBB2_610:
	s_or_b64 exec, exec, s[20:21]
                                        ; implicit-def: $vgpr52_vgpr53
                                        ; implicit-def: $vgpr44_vgpr45
                                        ; implicit-def: $agpr16_agpr17
                                        ; implicit-def: $agpr14
                                        ; implicit-def: $vgpr36_vgpr37
                                        ; implicit-def: $vgpr34_vgpr35
                                        ; implicit-def: $vgpr32_vgpr33
                                        ; implicit-def: $vgpr0
                                        ; implicit-def: $vgpr15
                                        ; implicit-def: $vgpr48_vgpr49
.LBB2_611:
	s_andn2_saveexec_b64 s[22:23], s[26:27]
	s_cbranch_execz .LBB2_782
; %bb.612:
	s_mov_b64 s[28:29], 0
	v_cmp_ne_u64_e32 vcc, 0, v[44:45]
	v_pk_mov_b32 v[38:39], 0, 0
	s_and_saveexec_b64 s[26:27], vcc
	s_cbranch_execz .LBB2_781
; %bb.613:
	v_and_b32_e32 v1, 63, v31
	v_cmp_eq_u32_e64 s[12:13], 0, v1
	v_ashrrev_i32_e32 v1, 31, v0
	v_lshrrev_b32_e32 v1, 26, v1
	s_waitcnt vmcnt(0)
	v_lshrrev_b32_e32 v10, 6, v56
	v_add_u32_e32 v1, v0, v1
	v_and_b32_e32 v2, 0xffffffc0, v1
	v_ashrrev_i32_e32 v1, 6, v1
	v_lshlrev_b32_e32 v26, 10, v10
	v_sub_u32_e32 v11, 0, v1
	v_add_u32_e32 v1, 0xfffffc00, v26
	s_movk_i32 s18, 0x400
	v_ashrrev_i32_e32 v3, 31, v1
	v_add_co_u32_e64 v27, s[18:19], s18, v1
	v_addc_co_u32_e64 v28, s[18:19], 0, v3, s[18:19]
	v_mov_b32_e32 v1, 0xfffffe00
	v_lshl_add_u32 v1, v10, 9, v1
	s_movk_i32 s18, 0x200
	v_ashrrev_i32_e32 v3, 31, v1
	v_add_co_u32_e64 v29, s[18:19], s18, v1
	v_addc_co_u32_e64 v30, s[18:19], 0, v3, s[18:19]
	v_lshlrev_b32_e32 v57, 7, v10
	v_add_u32_e32 v1, 0xffffff80, v57
	s_movk_i32 s18, 0x80
	s_lshr_b32 s6, s62, 27
	v_ashrrev_i32_e32 v3, 31, v1
	v_add_co_u32_e64 v50, s[18:19], s18, v1
	s_waitcnt lgkmcnt(0)
	v_accvgpr_read_b32 v4, a16
	s_add_i32 s62, s62, s6
	v_cmp_eq_u32_e32 vcc, 64, v56
	v_sub_u32_e32 v2, v0, v2
	v_lshlrev_b32_e32 v14, 4, v0
	v_addc_co_u32_e64 v51, s[18:19], 0, v3, s[18:19]
	v_accvgpr_read_b32 v5, a17
	v_pk_mov_b32 v[16:17], 0, 0
	s_ashr_i32 s58, s62, 5
	v_cmp_ge_i32_e64 s[6:7], v0, v56
	v_cmp_ne_u32_e64 s[10:11], 64, v56
	v_cmp_ne_u32_sdwa s[30:31], v58, v56 src0_sel:WORD_0 src1_sel:DWORD
	v_mov_b32_e32 v13, 0
	v_cmp_gt_i32_e64 s[14:15], 1, v2
	v_cmp_lt_i32_e64 s[16:17], v2, v15
	v_ashrrev_i32_e32 v15, 31, v14
	v_cmp_ne_u64_e64 s[18:19], 0, v[4:5]
	s_movk_i32 s59, 0x270e
	v_mov_b32_e32 v55, 1
	s_xor_b64 s[34:35], vcc, -1
	v_lshlrev_b64 v[18:19], 1, v[52:53]
	v_pk_mov_b32 v[38:39], v[16:17], v[16:17] op_sel:[0,1]
	s_trap 2
	s_branch .LBB2_617
.LBB2_614:                              ;   in Loop: Header=BB2_617 Depth=1
	s_or_b64 exec, exec, vcc
	v_add_co_u32_e32 v8, vcc, 1, v8
	v_addc_co_u32_e32 v9, vcc, 0, v9, vcc
	flat_store_dwordx2 v[32:33], v[8:9]
.LBB2_615:                              ;   in Loop: Header=BB2_617 Depth=1
	s_or_b64 exec, exec, s[20:21]
.LBB2_616:                              ;   in Loop: Header=BB2_617 Depth=1
	s_or_b64 exec, exec, s[38:39]
	v_add_co_u32_e32 v16, vcc, v16, v48
	v_addc_co_u32_e32 v17, vcc, 0, v17, vcc
	v_cmp_ge_u64_e32 vcc, v[16:17], v[44:45]
	s_or_b64 s[28:29], vcc, s[28:29]
	s_andn2_b64 exec, exec, s[28:29]
	s_cbranch_execz .LBB2_780
.LBB2_617:                              ; =>This Loop Header: Depth=1
                                        ;     Child Loop BB2_626 Depth 2
                                        ;     Child Loop BB2_650 Depth 2
	;; [unrolled: 1-line block ×10, first 2 shown]
	v_sub_co_u32_e32 v4, vcc, v44, v16
	v_subb_co_u32_e32 v5, vcc, v45, v17, vcc
	v_cmp_lt_u64_e32 vcc, v[48:49], v[4:5]
	v_cndmask_b32_e64 v21, v5, 0, vcc
	v_cndmask_b32_e32 v20, v4, v48, vcc
	v_add_u32_e32 v1, 15, v20
	v_cmp_eq_u64_e32 vcc, 0, v[20:21]
	v_and_b32_e32 v1, 0x3ffffff0, v1
	s_or_b64 s[36:37], s[6:7], vcc
	v_max_i32_e32 v52, s58, v1
	s_xor_b64 s[20:21], s[36:37], -1
	v_mov_b32_e32 v1, 0
	s_and_saveexec_b64 s[38:39], s[20:21]
	s_cbranch_execz .LBB2_733
; %bb.618:                              ;   in Loop: Header=BB2_617 Depth=1
	s_and_saveexec_b64 s[20:21], s[4:5]
	s_cbranch_execz .LBB2_620
; %bb.619:                              ;   in Loop: Header=BB2_617 Depth=1
	s_trap 2
	ds_read_b64 v[4:5], v0
	v_mov_b32_e32 v12, v13
	ds_write_b64 v0, v[12:13]
	s_waitcnt lgkmcnt(0)
	v_add_co_u32_e32 v1, vcc, v4, v18
	v_addc_co_u32_e32 v3, vcc, v5, v19, vcc
	v_lshlrev_b64 v[4:5], 1, v[16:17]
	v_add_co_u32_e32 v4, vcc, v1, v4
	v_addc_co_u32_e32 v5, vcc, v3, v5, vcc
	ds_write_b64 v0, v[4:5]
.LBB2_620:                              ;   in Loop: Header=BB2_617 Depth=1
	s_or_b64 exec, exec, s[20:21]
	v_and_b32_e32 v1, 8, v54
	v_cmp_ne_u32_e32 vcc, 0, v1
	s_mov_b64 s[40:41], -1
	s_and_saveexec_b64 s[20:21], vcc
	s_cbranch_execz .LBB2_632
; %bb.621:                              ;   in Loop: Header=BB2_617 Depth=1
	v_add_co_u32_e32 v4, vcc, 8, v36
	v_addc_co_u32_e32 v5, vcc, 0, v37, vcc
	v_add_co_u32_e32 v22, vcc, 1, v8
	v_addc_co_u32_e32 v23, vcc, 0, v9, vcc
	v_cmp_lt_u64_e32 vcc, v[4:5], v[22:23]
	v_mov_b32_e32 v1, 1
	s_and_saveexec_b64 s[40:41], vcc
	s_cbranch_execz .LBB2_631
; %bb.622:                              ;   in Loop: Header=BB2_617 Depth=1
	s_mov_b64 s[42:43], 0
	v_mov_b32_e32 v1, 0
                                        ; implicit-def: $sgpr44_sgpr45
	s_branch .LBB2_626
.LBB2_623:                              ;   in Loop: Header=BB2_626 Depth=2
	s_or_b64 exec, exec, s[52:53]
	v_mov_b32_e32 v3, 0
	s_orn2_b64 s[50:51], s[50:51], exec
.LBB2_624:                              ;   in Loop: Header=BB2_626 Depth=2
	s_or_b64 exec, exec, s[48:49]
	s_andn2_b64 vcc, s[44:45], exec
	s_and_b64 s[44:45], s[50:51], exec
	s_or_b64 s[44:45], vcc, s[44:45]
	v_mov_b32_e32 v1, v3
.LBB2_625:                              ;   in Loop: Header=BB2_626 Depth=2
	s_or_b64 exec, exec, s[46:47]
	s_waitcnt vmcnt(0) lgkmcnt(0)
	v_add_co_u32_e32 v4, vcc, 8, v36
	v_addc_co_u32_e32 v5, vcc, 0, v37, vcc
	v_cmp_ge_u64_e32 vcc, v[4:5], v[22:23]
	s_xor_b64 s[46:47], s[44:45], -1
	s_or_b64 vcc, s[46:47], vcc
	s_and_b64 vcc, exec, vcc
	s_or_b64 s[42:43], vcc, s[42:43]
	s_andn2_b64 exec, exec, s[42:43]
	s_cbranch_execz .LBB2_630
.LBB2_626:                              ;   Parent Loop BB2_617 Depth=1
                                        ; =>  This Inner Loop Header: Depth=2
	s_sleep 1
	flat_load_dwordx2 v[36:37], v[32:33] glc
	v_and_b32_e32 v3, 64, v54
	v_cmp_eq_u32_e32 vcc, 0, v3
	s_andn2_b64 s[44:45], s[44:45], exec
	s_and_saveexec_b64 s[46:47], vcc
	s_cbranch_execz .LBB2_625
; %bb.627:                              ;   in Loop: Header=BB2_626 Depth=2
	v_add_u32_e32 v3, 1, v1
	v_cmp_lt_i32_e32 vcc, s59, v1
	s_mov_b64 s[50:51], -1
	s_and_saveexec_b64 s[48:49], vcc
	s_cbranch_execz .LBB2_624
; %bb.628:                              ;   in Loop: Header=BB2_626 Depth=2
	s_trap 2
	ds_read_b64 v[4:5], v0
	s_waitcnt vmcnt(0) lgkmcnt(0)
	flat_load_dword v1, v[4:5] glc
	s_waitcnt vmcnt(0) lgkmcnt(0)
	buffer_invl2
	buffer_wbinvl1_vol
	v_cmp_ne_u32_e32 vcc, 0, v1
	s_and_saveexec_b64 s[52:53], vcc
	s_cbranch_execz .LBB2_623
; %bb.629:                              ;   in Loop: Header=BB2_626 Depth=2
	v_or_b32_e32 v54, 64, v54
	s_xor_b64 s[50:51], exec, -1
	ds_write_b32 v0, v1
	s_trap 2
	s_branch .LBB2_623
.LBB2_630:                              ;   in Loop: Header=BB2_617 Depth=1
	s_or_b64 exec, exec, s[42:43]
	v_and_b32_e32 v1, 8, v54
.LBB2_631:                              ;   in Loop: Header=BB2_617 Depth=1
	s_or_b64 exec, exec, s[40:41]
	v_cmp_eq_u32_e32 vcc, 0, v1
	s_orn2_b64 s[40:41], vcc, exec
	;;#ASMSTART
	s_wakeup
	;;#ASMEND
.LBB2_632:                              ;   in Loop: Header=BB2_617 Depth=1
	s_or_b64 exec, exec, s[20:21]
	s_xor_b64 s[20:21], s[40:41], -1
	v_min_u32_e32 v52, v52, v20
	s_and_saveexec_b64 s[40:41], s[20:21]
	s_cbranch_execz .LBB2_642
; %bb.633:                              ;   in Loop: Header=BB2_617 Depth=1
	v_and_b32_e32 v1, 0x100, v54
	v_cmp_ne_u32_e32 vcc, 0, v1
	v_and_b32_e32 v1, 7, v8
	s_mov_b64 s[20:21], -1
                                        ; implicit-def: $vgpr22_vgpr23
	s_and_saveexec_b64 s[42:43], vcc
	s_cbranch_execz .LBB2_637
; %bb.634:                              ;   in Loop: Header=BB2_617 Depth=1
	v_mad_u64_u32 v[24:25], s[20:21], v1, 24, v[6:7]
	flat_load_dword v3, v[24:25]
	v_lshlrev_b32_e32 v12, 1, v52
	flat_store_dwordx2 v[24:25], v[12:13] offset:8
                                        ; implicit-def: $vgpr22_vgpr23
	s_waitcnt vmcnt(0) lgkmcnt(0)
	v_cmp_ne_u32_e32 vcc, 1, v3
	v_cmp_eq_u32_e64 s[20:21], 1, v3
	s_and_saveexec_b64 s[44:45], s[20:21]
	s_cbranch_execz .LBB2_636
; %bb.635:                              ;   in Loop: Header=BB2_617 Depth=1
	flat_load_dword v4, v[24:25] offset:4 glc
	s_waitcnt vmcnt(0) lgkmcnt(0)
	v_ashrrev_i32_e32 v5, 31, v4
	v_lshrrev_b64 v[22:23], 1, v[4:5]
.LBB2_636:                              ;   in Loop: Header=BB2_617 Depth=1
	s_or_b64 exec, exec, s[44:45]
	s_orn2_b64 s[20:21], vcc, exec
.LBB2_637:                              ;   in Loop: Header=BB2_617 Depth=1
	s_or_b64 exec, exec, s[42:43]
	s_and_saveexec_b64 vcc, s[20:21]
; %bb.638:                              ;   in Loop: Header=BB2_617 Depth=1
	v_accvgpr_read_b32 v4, a14
	v_mad_i64_i32 v[22:23], s[20:21], v1, v4, 0
; %bb.639:                              ;   in Loop: Header=BB2_617 Depth=1
	s_or_b64 exec, exec, vcc
	v_lshlrev_b64 v[4:5], 1, v[22:23]
	v_add_co_u32_e32 v4, vcc, v34, v4
	v_addc_co_u32_e32 v5, vcc, v35, v5, vcc
	v_and_b32_e32 v1, 0x2000, v54
	v_cmp_ne_u32_e32 vcc, 0, v1
	ds_write_b64 v0, v[4:5] offset:784
	s_and_saveexec_b64 s[20:21], vcc
	s_cbranch_execz .LBB2_641
; %bb.640:                              ;   in Loop: Header=BB2_617 Depth=1
	ds_read_b64 v[4:5], v0 offset:584
	s_waitcnt lgkmcnt(0)
	v_add_co_u32_e32 v4, vcc, 1, v4
	v_addc_co_u32_e32 v5, vcc, 0, v5, vcc
	ds_write_b64 v0, v[4:5] offset:584
.LBB2_641:                              ;   in Loop: Header=BB2_617 Depth=1
	s_or_b64 exec, exec, s[20:21]
	v_add_co_u32_e32 v8, vcc, 1, v8
	v_addc_co_u32_e32 v9, vcc, 0, v9, vcc
.LBB2_642:                              ;   in Loop: Header=BB2_617 Depth=1
	s_or_b64 exec, exec, s[40:41]
	s_and_saveexec_b64 s[20:21], s[10:11]
	s_cbranch_execz .LBB2_661
; %bb.643:                              ;   in Loop: Header=BB2_617 Depth=1
	s_and_saveexec_b64 vcc, s[30:31]
	s_xor_b64 s[40:41], exec, vcc
	s_cbranch_execz .LBB2_658
; %bb.644:                              ;   in Loop: Header=BB2_617 Depth=1
	s_and_saveexec_b64 s[42:43], s[12:13]
	s_cbranch_execz .LBB2_657
; %bb.645:                              ;   in Loop: Header=BB2_617 Depth=1
	s_mov_b64 s[46:47], exec
	v_mbcnt_lo_u32_b32 v1, s46, 0
	v_mbcnt_hi_u32_b32 v1, s47, v1
	v_cmp_eq_u32_e32 vcc, 0, v1
	s_waitcnt vmcnt(0) lgkmcnt(0)
	buffer_wbinvl1_vol
	s_and_saveexec_b64 s[44:45], vcc
	s_cbranch_execz .LBB2_647
; %bb.646:                              ;   in Loop: Header=BB2_617 Depth=1
	s_bcnt1_i32_b64 vcc_lo, s[46:47]
	v_mov_b32_e32 v12, vcc_lo
	ds_add_u64 v0, v[12:13]
	s_trap 2
.LBB2_647:                              ;   in Loop: Header=BB2_617 Depth=1
	s_or_b64 exec, exec, s[44:45]
	s_trap 2
	ds_read_b64 v[4:5], v0
	v_add_co_u32_e32 v38, vcc, v38, v10
	v_addc_co_u32_e32 v39, vcc, 0, v39, vcc
	s_waitcnt lgkmcnt(0)
	v_cmp_lt_u64_e32 vcc, v[4:5], v[38:39]
	s_and_saveexec_b64 s[44:45], vcc
	s_cbranch_execz .LBB2_656
; %bb.648:                              ;   in Loop: Header=BB2_617 Depth=1
	s_mov_b32 s56, 0
	s_mov_b64 s[46:47], 0
                                        ; implicit-def: $sgpr48_sgpr49
                                        ; implicit-def: $sgpr50_sgpr51
	s_branch .LBB2_650
.LBB2_649:                              ;   in Loop: Header=BB2_650 Depth=2
	s_or_b64 exec, exec, s[54:55]
	s_and_b64 vcc, exec, vcc
	s_or_b64 s[46:47], vcc, s[46:47]
	s_andn2_b64 vcc, s[48:49], exec
	s_and_b64 s[48:49], s[50:51], exec
	s_or_b64 s[48:49], vcc, s[48:49]
	s_andn2_b64 exec, exec, s[46:47]
	s_cbranch_execz .LBB2_654
.LBB2_650:                              ;   Parent Loop BB2_617 Depth=1
                                        ; =>  This Inner Loop Header: Depth=2
	s_add_i32 s56, s56, 1
	s_cmpk_lg_i32 s56, 0x2710
	s_cselect_b64 s[52:53], -1, 0
	s_and_b64 vcc, exec, s[52:53]
                                        ; implicit-def: $sgpr54_sgpr55
	s_cbranch_vccnz .LBB2_652
; %bb.651:                              ;   in Loop: Header=BB2_650 Depth=2
	s_trap 2
	ds_read_b64 v[4:5], v0
	s_andn2_b64 s[52:53], s[52:53], exec
	s_mov_b32 s56, 0
	s_mov_b64 s[54:55], -1
	s_waitcnt lgkmcnt(0)
	flat_load_dword v1, v[4:5] glc
	s_waitcnt vmcnt(0) lgkmcnt(0)
	buffer_invl2
	buffer_wbinvl1_vol
	v_cmp_eq_u32_e32 vcc, 0, v1
	s_and_b64 vcc, vcc, exec
	s_or_b64 s[52:53], s[52:53], vcc
.LBB2_652:                              ;   in Loop: Header=BB2_650 Depth=2
	s_andn2_b64 s[50:51], s[50:51], exec
	s_and_b64 s[54:55], s[54:55], exec
	s_mov_b64 vcc, -1
	s_or_b64 s[50:51], s[50:51], s[54:55]
	s_and_saveexec_b64 s[54:55], s[52:53]
	s_cbranch_execz .LBB2_649
; %bb.653:                              ;   in Loop: Header=BB2_650 Depth=2
	s_sleep 1
	s_trap 2
	ds_read_b64 v[4:5], v0
	s_andn2_b64 s[50:51], s[50:51], exec
	s_waitcnt lgkmcnt(0)
	v_cmp_ge_u64_e32 vcc, v[4:5], v[38:39]
	s_orn2_b64 vcc, vcc, exec
	s_branch .LBB2_649
.LBB2_654:                              ;   in Loop: Header=BB2_617 Depth=1
	s_or_b64 exec, exec, s[46:47]
	s_and_saveexec_b64 vcc, s[48:49]
	s_xor_b64 vcc, exec, vcc
	s_cbranch_execz .LBB2_656
; %bb.655:                              ;   in Loop: Header=BB2_617 Depth=1
	ds_write_b32 v0, v55
	s_trap 2
.LBB2_656:                              ;   in Loop: Header=BB2_617 Depth=1
	s_or_b64 exec, exec, s[44:45]
	;;#ASMSTART
	s_wakeup
	;;#ASMEND
.LBB2_657:                              ;   in Loop: Header=BB2_617 Depth=1
	s_or_b64 exec, exec, s[42:43]
.LBB2_658:                              ;   in Loop: Header=BB2_617 Depth=1
	s_andn2_saveexec_b64 vcc, s[40:41]
	s_cbranch_execz .LBB2_660
; %bb.659:                              ;   in Loop: Header=BB2_617 Depth=1
	s_waitcnt vmcnt(0) lgkmcnt(0)
	buffer_wbinvl1_vol
	s_barrier
.LBB2_660:                              ;   in Loop: Header=BB2_617 Depth=1
	s_or_b64 exec, exec, vcc
.LBB2_661:                              ;   in Loop: Header=BB2_617 Depth=1
	s_or_b64 exec, exec, s[20:21]
	s_trap 2
	ds_read_b32 v1, v0
	v_and_b32_e32 v3, 0x4000, v54
	v_cmp_ne_u32_e32 vcc, 0, v3
	s_and_b64 vcc, s[34:35], vcc
	s_and_saveexec_b64 s[20:21], vcc
	s_cbranch_execz .LBB2_680
; %bb.662:                              ;   in Loop: Header=BB2_617 Depth=1
	s_and_saveexec_b64 vcc, s[30:31]
	s_xor_b64 s[40:41], exec, vcc
	s_cbranch_execz .LBB2_677
; %bb.663:                              ;   in Loop: Header=BB2_617 Depth=1
	s_and_saveexec_b64 s[42:43], s[12:13]
	s_cbranch_execz .LBB2_676
; %bb.664:                              ;   in Loop: Header=BB2_617 Depth=1
	s_mov_b64 s[46:47], exec
	v_mbcnt_lo_u32_b32 v3, s46, 0
	v_mbcnt_hi_u32_b32 v3, s47, v3
	v_cmp_eq_u32_e32 vcc, 0, v3
	s_waitcnt vmcnt(0) lgkmcnt(0)
	buffer_wbinvl1_vol
	s_and_saveexec_b64 s[44:45], vcc
	s_cbranch_execz .LBB2_666
; %bb.665:                              ;   in Loop: Header=BB2_617 Depth=1
	s_bcnt1_i32_b64 vcc_lo, s[46:47]
	v_mov_b32_e32 v12, vcc_lo
	ds_add_u64 v0, v[12:13]
	s_trap 2
.LBB2_666:                              ;   in Loop: Header=BB2_617 Depth=1
	s_or_b64 exec, exec, s[44:45]
	s_trap 2
	ds_read_b64 v[4:5], v0
	v_add_co_u32_e32 v38, vcc, v38, v10
	v_addc_co_u32_e32 v39, vcc, 0, v39, vcc
	s_waitcnt lgkmcnt(0)
	v_cmp_lt_u64_e32 vcc, v[4:5], v[38:39]
	s_and_saveexec_b64 s[44:45], vcc
	s_cbranch_execz .LBB2_675
; %bb.667:                              ;   in Loop: Header=BB2_617 Depth=1
	s_mov_b32 s56, 0
	s_mov_b64 s[46:47], 0
                                        ; implicit-def: $sgpr48_sgpr49
                                        ; implicit-def: $sgpr50_sgpr51
	s_branch .LBB2_669
.LBB2_668:                              ;   in Loop: Header=BB2_669 Depth=2
	s_or_b64 exec, exec, s[54:55]
	s_and_b64 vcc, exec, vcc
	s_or_b64 s[46:47], vcc, s[46:47]
	s_andn2_b64 vcc, s[48:49], exec
	s_and_b64 s[48:49], s[50:51], exec
	s_or_b64 s[48:49], vcc, s[48:49]
	s_andn2_b64 exec, exec, s[46:47]
	s_cbranch_execz .LBB2_673
.LBB2_669:                              ;   Parent Loop BB2_617 Depth=1
                                        ; =>  This Inner Loop Header: Depth=2
	s_add_i32 s56, s56, 1
	s_cmpk_lg_i32 s56, 0x2710
	s_cselect_b64 s[52:53], -1, 0
	s_and_b64 vcc, exec, s[52:53]
                                        ; implicit-def: $sgpr54_sgpr55
	s_cbranch_vccnz .LBB2_671
; %bb.670:                              ;   in Loop: Header=BB2_669 Depth=2
	s_trap 2
	ds_read_b64 v[4:5], v0
	s_andn2_b64 s[52:53], s[52:53], exec
	s_mov_b32 s56, 0
	s_mov_b64 s[54:55], -1
	s_waitcnt lgkmcnt(0)
	flat_load_dword v3, v[4:5] glc
	s_waitcnt vmcnt(0) lgkmcnt(0)
	buffer_invl2
	buffer_wbinvl1_vol
	v_cmp_eq_u32_e32 vcc, 0, v3
	s_and_b64 vcc, vcc, exec
	s_or_b64 s[52:53], s[52:53], vcc
.LBB2_671:                              ;   in Loop: Header=BB2_669 Depth=2
	s_andn2_b64 s[50:51], s[50:51], exec
	s_and_b64 s[54:55], s[54:55], exec
	s_mov_b64 vcc, -1
	s_or_b64 s[50:51], s[50:51], s[54:55]
	s_and_saveexec_b64 s[54:55], s[52:53]
	s_cbranch_execz .LBB2_668
; %bb.672:                              ;   in Loop: Header=BB2_669 Depth=2
	s_sleep 1
	s_trap 2
	ds_read_b64 v[4:5], v0
	s_andn2_b64 s[50:51], s[50:51], exec
	s_waitcnt lgkmcnt(0)
	v_cmp_ge_u64_e32 vcc, v[4:5], v[38:39]
	s_orn2_b64 vcc, vcc, exec
	s_branch .LBB2_668
.LBB2_673:                              ;   in Loop: Header=BB2_617 Depth=1
	s_or_b64 exec, exec, s[46:47]
	s_and_saveexec_b64 vcc, s[48:49]
	s_xor_b64 vcc, exec, vcc
	s_cbranch_execz .LBB2_675
; %bb.674:                              ;   in Loop: Header=BB2_617 Depth=1
	ds_write_b32 v0, v55
	s_trap 2
.LBB2_675:                              ;   in Loop: Header=BB2_617 Depth=1
	s_or_b64 exec, exec, s[44:45]
	;;#ASMSTART
	s_wakeup
	;;#ASMEND
.LBB2_676:                              ;   in Loop: Header=BB2_617 Depth=1
	s_or_b64 exec, exec, s[42:43]
.LBB2_677:                              ;   in Loop: Header=BB2_617 Depth=1
	s_andn2_saveexec_b64 vcc, s[40:41]
	s_cbranch_execz .LBB2_679
; %bb.678:                              ;   in Loop: Header=BB2_617 Depth=1
	s_waitcnt vmcnt(0) lgkmcnt(0)
	buffer_wbinvl1_vol
	s_barrier
.LBB2_679:                              ;   in Loop: Header=BB2_617 Depth=1
	s_or_b64 exec, exec, vcc
.LBB2_680:                              ;   in Loop: Header=BB2_617 Depth=1
	s_or_b64 exec, exec, s[20:21]
	s_trap 2
	ds_read_b64 v[4:5], v0
	s_waitcnt lgkmcnt(0)
	v_readfirstlane_b32 s20, v4
	v_readfirstlane_b32 s21, v5
	s_cmp_eq_u64 s[20:21], 0
	s_cselect_b64 s[20:21], -1, 0
	s_or_b64 vcc, s[20:21], s[20:21]
	s_mov_b64 s[20:21], 0
	s_and_b64 vcc, exec, vcc
	s_cbranch_vccnz .LBB2_707
; %bb.681:                              ;   in Loop: Header=BB2_617 Depth=1
	s_mov_b64 s[20:21], -1
	s_and_saveexec_b64 s[40:41], s[14:15]
	s_cbranch_execz .LBB2_683
; %bb.682:                              ;   in Loop: Header=BB2_617 Depth=1
	ds_read_b32 v3, v0 offset:720
	s_waitcnt lgkmcnt(0)
	v_and_b32_e32 v3, 15, v3
	v_cmp_eq_u32_e32 vcc, 0, v3
	s_orn2_b64 s[20:21], vcc, exec
.LBB2_683:                              ;   in Loop: Header=BB2_617 Depth=1
	s_or_b64 exec, exec, s[40:41]
	s_and_saveexec_b64 s[40:41], s[16:17]
	s_cbranch_execz .LBB2_685
; %bb.684:                              ;   in Loop: Header=BB2_617 Depth=1
	ds_read_b32 v3, v0 offset:784
	s_waitcnt lgkmcnt(0)
	v_and_b32_e32 v3, 15, v3
	v_cmp_eq_u32_e32 vcc, 0, v3
	s_and_b64 vcc, s[20:21], vcc
	s_andn2_b64 s[20:21], s[20:21], exec
	s_and_b64 vcc, vcc, exec
	s_or_b64 s[20:21], s[20:21], vcc
.LBB2_685:                              ;   in Loop: Header=BB2_617 Depth=1
	s_or_b64 exec, exec, s[40:41]
	v_cmp_eq_u32_e32 vcc, 0, v1
	s_xor_b64 s[20:21], s[20:21], -1
	v_accvgpr_write_b32 a0, v6
	v_cndmask_b32_e32 v1, 0, v52, vcc
	v_cndmask_b32_e64 v3, 0, 1, s[20:21]
	v_accvgpr_write_b32 a1, v7
	v_accvgpr_write_b32 a2, v8
	;; [unrolled: 1-line block ×3, first 2 shown]
	v_mov_b32_e32 v53, 0
	v_lshlrev_b32_e32 v21, 1, v1
	s_mov_b64 s[42:43], -1
	;;#ASMSTART
	;;#ASMEND
	v_cmp_ne_u32_e32 vcc, 0, v3
	s_cbranch_vccz .LBB2_687
; %bb.686:                              ;   in Loop: Header=BB2_617 Depth=1
	v_mov_b32_e32 v40, v0
	s_and_saveexec_b64 s[20:21], s[42:43]
	s_cbranch_execnz .LBB2_698
	s_branch .LBB2_706
.LBB2_687:                              ;   in Loop: Header=BB2_617 Depth=1
	v_lshrrev_b32_e32 v4, 9, v1
	v_lshlrev_b32_e32 v3, 10, v4
	v_sub_u32_e32 v41, v21, v3
	v_cmp_lt_i32_e32 vcc, 15, v41
	v_sub_u32_e32 v53, v21, v14
	v_addc_co_u32_e64 v12, s[20:21], v4, v11, vcc
	v_cmp_lt_i32_e64 s[20:21], 15, v53
	s_and_saveexec_b64 s[40:41], s[20:21]
	s_cbranch_execz .LBB2_691
; %bb.688:                              ;   in Loop: Header=BB2_617 Depth=1
	s_trap 2
	ds_read_b64 v[22:23], v0
	v_pk_mov_b32 v[6:7], v[44:45], v[44:45] op_sel:[0,1]
	s_mov_b64 s[42:43], 0
	v_pk_mov_b32 v[24:25], v[14:15], v[14:15] op_sel:[0,1]
.LBB2_689:                              ;   Parent Loop BB2_617 Depth=1
                                        ; =>  This Inner Loop Header: Depth=2
	s_waitcnt lgkmcnt(0)
	v_add_co_u32_e64 v4, s[20:21], v22, v24
	v_addc_co_u32_e64 v5, s[20:21], v23, v25, s[20:21]
	global_load_dwordx4 v[42:45], v[4:5], off glc slc
	v_add_co_u32_e64 v24, s[20:21], v24, v27
	v_sub_u32_e32 v53, v53, v26
	v_addc_co_u32_e64 v25, s[20:21], v25, v28, s[20:21]
	v_cmp_gt_i32_e64 s[20:21], 16, v53
	v_sub_u32_e32 v12, v12, v10
	s_or_b64 s[42:43], s[20:21], s[42:43]
	s_waitcnt vmcnt(0)
	global_store_dwordx4 v[4:5], v[42:45], off glc slc
	s_andn2_b64 exec, exec, s[42:43]
	s_cbranch_execnz .LBB2_689
; %bb.690:                              ;   in Loop: Header=BB2_617 Depth=1
	s_or_b64 exec, exec, s[42:43]
	v_pk_mov_b32 v[44:45], v[6:7], v[6:7] op_sel:[0,1]
.LBB2_691:                              ;   in Loop: Header=BB2_617 Depth=1
	s_or_b64 exec, exec, s[40:41]
	v_and_b32_e32 v22, 14, v21
	v_cndmask_b32_e32 v24, v41, v22, vcc
	v_cmp_ne_u32_e64 s[20:21], 0, v24
	s_mov_b64 s[42:43], 0
	v_mov_b32_e32 v53, 0
                                        ; implicit-def: $vgpr21
                                        ; implicit-def: $vgpr40
	s_and_saveexec_b64 s[40:41], s[20:21]
	s_cbranch_execz .LBB2_697
; %bb.692:                              ;   in Loop: Header=BB2_617 Depth=1
	v_sub_u32_e32 v4, v41, v22
	v_cndmask_b32_e32 v4, 0, v4, vcc
	v_cmp_lt_i32_e32 vcc, 0, v12
	v_add_u32_e32 v21, v4, v3
	v_cndmask_b32_e32 v3, 0, v10, vcc
	v_sub_u32_e32 v3, v3, v12
	v_lshl_add_u32 v3, v3, 6, v2
	v_ashrrev_i32_e32 v4, 31, v3
	v_lshrrev_b32_e32 v4, 26, v4
	v_add_u32_e32 v4, v3, v4
	v_ashrrev_i32_e32 v5, 6, v4
	v_and_b32_e32 v4, 0xffffffc0, v4
	v_sub_u32_e32 v25, v3, v4
	v_ashrrev_i32_e32 v4, 31, v24
	v_lshrrev_b32_e32 v4, 22, v4
	v_add_u32_e32 v4, v24, v4
	v_and_b32_e32 v53, 0xfffffc00, v4
	v_lshlrev_b32_e32 v3, 4, v25
	v_sub_u32_e32 v40, v24, v53
	v_lshl_add_u32 v3, v5, 10, v3
	v_ashrrev_i32_e32 v6, 10, v4
	v_cmp_lt_i32_e32 vcc, 15, v40
	v_sub_u32_e32 v42, v24, v3
	v_addc_co_u32_e64 v4, s[20:21], 0, v6, vcc
	v_sub_u32_e32 v41, v4, v5
	v_cmp_lt_i32_e64 s[20:21], 15, v42
	s_and_saveexec_b64 s[42:43], s[20:21]
	s_cbranch_execz .LBB2_696
; %bb.693:                              ;   in Loop: Header=BB2_617 Depth=1
	s_trap 2
	ds_read_b64 v[22:23], v0
	v_add_u32_e32 v12, v3, v21
	v_pk_mov_b32 v[6:7], v[44:45], v[44:45] op_sel:[0,1]
	v_ashrrev_i32_e32 v3, 31, v12
	s_mov_b64 s[44:45], 0
.LBB2_694:                              ;   Parent Loop BB2_617 Depth=1
                                        ; =>  This Inner Loop Header: Depth=2
	s_waitcnt lgkmcnt(0)
	v_add_co_u32_e64 v4, s[20:21], v22, v12
	v_addc_co_u32_e64 v5, s[20:21], v23, v3, s[20:21]
	global_load_dwordx4 v[44:47], v[4:5], off glc slc
	v_add_co_u32_e64 v12, s[20:21], v12, v27
	v_sub_u32_e32 v42, v42, v26
	v_addc_co_u32_e64 v3, s[20:21], v3, v28, s[20:21]
	v_cmp_gt_i32_e64 s[20:21], 16, v42
	v_sub_u32_e32 v41, v41, v10
	s_or_b64 s[44:45], s[20:21], s[44:45]
	s_waitcnt vmcnt(0)
	global_store_dwordx4 v[4:5], v[44:47], off glc slc
	s_andn2_b64 exec, exec, s[44:45]
	s_cbranch_execnz .LBB2_694
; %bb.695:                              ;   in Loop: Header=BB2_617 Depth=1
	s_or_b64 exec, exec, s[44:45]
	v_pk_mov_b32 v[44:45], v[6:7], v[6:7] op_sel:[0,1]
.LBB2_696:                              ;   in Loop: Header=BB2_617 Depth=1
	s_or_b64 exec, exec, s[42:43]
	v_and_b32_e32 v3, 14, v24
	v_sub_u32_e32 v4, v40, v3
	v_cndmask_b32_e32 v4, 0, v4, vcc
	v_add3_u32 v53, v53, v21, v4
	v_cndmask_b32_e32 v21, v40, v3, vcc
	v_cmp_lt_i32_e32 vcc, 0, v41
	v_cndmask_b32_e32 v3, 0, v10, vcc
	v_sub_u32_e32 v3, v3, v41
	v_cmp_ne_u32_e32 vcc, 0, v21
	v_lshl_add_u32 v40, v3, 6, v25
	s_and_b64 s[42:43], vcc, exec
.LBB2_697:                              ;   in Loop: Header=BB2_617 Depth=1
	s_or_b64 exec, exec, s[40:41]
	s_and_saveexec_b64 s[20:21], s[42:43]
	s_cbranch_execz .LBB2_706
.LBB2_698:                              ;   in Loop: Header=BB2_617 Depth=1
	v_ashrrev_i32_e32 v3, 31, v40
	v_ashrrev_i32_e32 v4, 31, v21
	v_lshrrev_b32_e32 v3, 26, v3
	v_lshrrev_b32_e32 v4, 23, v4
	v_add_u32_e32 v3, v40, v3
	v_add_u32_e32 v4, v21, v4
	v_ashrrev_i32_e32 v41, 6, v3
	v_ashrrev_i32_e32 v43, 9, v4
	v_sub_u32_e32 v42, v43, v41
	v_cmp_lt_i32_e32 vcc, 0, v42
	s_and_saveexec_b64 s[40:41], vcc
	s_cbranch_execz .LBB2_702
; %bb.699:                              ;   in Loop: Header=BB2_617 Depth=1
	s_trap 2
	ds_read_b64 v[22:23], v0
	v_and_b32_e32 v3, 0x7fffffc0, v3
	v_sub_u32_e32 v3, v40, v3
	v_lshlrev_b32_e32 v3, 1, v3
	v_lshlrev_b32_e32 v4, 9, v41
	v_add3_u32 v12, v3, v53, v4
	v_ashrrev_i32_e32 v3, 31, v12
	s_mov_b64 s[42:43], 0
	s_waitcnt lgkmcnt(0)
	v_pk_mov_b32 v[24:25], v[22:23], v[22:23] op_sel:[0,1]
.LBB2_700:                              ;   Parent Loop BB2_617 Depth=1
                                        ; =>  This Inner Loop Header: Depth=2
	v_add_co_u32_e32 v4, vcc, v12, v24
	v_addc_co_u32_e32 v5, vcc, v3, v25, vcc
	flat_load_ushort v6, v[4:5] glc slc
	flat_load_ushort v7, v[4:5] offset:128 glc slc
	flat_load_ushort v8, v[4:5] offset:256 glc slc
	;; [unrolled: 1-line block ×3, first 2 shown]
	v_add_co_u32_e32 v4, vcc, v12, v22
	v_addc_co_u32_e32 v5, vcc, v3, v23, vcc
	v_add_co_u32_e32 v24, vcc, v24, v29
	v_addc_co_u32_e32 v25, vcc, v25, v30, vcc
	v_add_co_u32_e32 v22, vcc, v22, v29
	v_sub_u32_e32 v42, v42, v10
	v_addc_co_u32_e32 v23, vcc, v23, v30, vcc
	v_cmp_gt_i32_e32 vcc, 1, v42
	s_or_b64 s[42:43], vcc, s[42:43]
	s_waitcnt vmcnt(0) lgkmcnt(0)
	flat_store_short v[4:5], v6 glc slc
	flat_store_short v[4:5], v7 offset:128 glc slc
	flat_store_short v[4:5], v8 offset:256 glc slc
	;; [unrolled: 1-line block ×3, first 2 shown]
	s_andn2_b64 exec, exec, s[42:43]
	s_cbranch_execnz .LBB2_700
; %bb.701:                              ;   in Loop: Header=BB2_617 Depth=1
	s_or_b64 exec, exec, s[42:43]
.LBB2_702:                              ;   in Loop: Header=BB2_617 Depth=1
	s_or_b64 exec, exec, s[40:41]
	v_lshlrev_b32_e32 v3, 9, v43
	v_cmp_ne_u32_e32 vcc, v21, v3
	s_and_b64 exec, exec, vcc
	s_cbranch_execz .LBB2_706
; %bb.703:                              ;   in Loop: Header=BB2_617 Depth=1
	v_lshlrev_b32_e32 v4, 6, v41
	v_sub_u32_e32 v4, v40, v4
	v_lshlrev_b32_e32 v5, 6, v42
	v_sub_u32_e32 v4, v4, v5
	v_ashrrev_i32_e32 v5, 31, v4
	v_lshrrev_b32_e32 v5, 26, v5
	v_add_u32_e32 v5, v4, v5
	v_and_b32_e32 v6, 0x7fffffc0, v5
	v_sub_u32_e32 v4, v4, v6
	v_lshlrev_b32_e32 v5, 1, v5
	v_and_b32_e32 v5, 0xffffff80, v5
	v_lshlrev_b32_e32 v4, 1, v4
	v_add3_u32 v3, v5, v4, v3
	v_sub_u32_e32 v21, v21, v3
	v_cmp_lt_i32_e32 vcc, 1, v21
	s_and_b64 exec, exec, vcc
	s_cbranch_execz .LBB2_706
; %bb.704:                              ;   in Loop: Header=BB2_617 Depth=1
	s_trap 2
	ds_read_b64 v[22:23], v0
	v_add_u32_e32 v12, v3, v53
	v_ashrrev_i32_e32 v3, 31, v12
	s_mov_b64 s[40:41], 0
.LBB2_705:                              ;   Parent Loop BB2_617 Depth=1
                                        ; =>  This Inner Loop Header: Depth=2
	s_waitcnt lgkmcnt(0)
	v_add_co_u32_e32 v4, vcc, v22, v12
	v_addc_co_u32_e32 v5, vcc, v23, v3, vcc
	flat_load_ushort v6, v[4:5] glc slc
	v_add_co_u32_e32 v12, vcc, v12, v50
	v_sub_u32_e32 v21, v21, v57
	v_addc_co_u32_e32 v3, vcc, v3, v51, vcc
	v_cmp_gt_i32_e32 vcc, 2, v21
	s_or_b64 s[40:41], vcc, s[40:41]
	s_waitcnt vmcnt(0) lgkmcnt(0)
	flat_store_short v[4:5], v6 glc slc
	s_andn2_b64 exec, exec, s[40:41]
	s_cbranch_execnz .LBB2_705
.LBB2_706:                              ;   in Loop: Header=BB2_617 Depth=1
	s_or_b64 exec, exec, s[20:21]
	v_accvgpr_read_b32 v9, a3
	v_cmp_ne_u32_e64 s[20:21], 0, v1
	v_accvgpr_read_b32 v8, a2
	v_accvgpr_read_b32 v7, a1
	;; [unrolled: 1-line block ×3, first 2 shown]
.LBB2_707:                              ;   in Loop: Header=BB2_617 Depth=1
	s_and_saveexec_b64 s[40:41], s[10:11]
	s_cbranch_execz .LBB2_726
; %bb.708:                              ;   in Loop: Header=BB2_617 Depth=1
	s_and_saveexec_b64 vcc, s[30:31]
	s_xor_b64 s[42:43], exec, vcc
	s_cbranch_execz .LBB2_723
; %bb.709:                              ;   in Loop: Header=BB2_617 Depth=1
	s_and_saveexec_b64 s[44:45], s[12:13]
	s_cbranch_execz .LBB2_722
; %bb.710:                              ;   in Loop: Header=BB2_617 Depth=1
	s_mov_b64 s[48:49], exec
	v_mbcnt_lo_u32_b32 v1, s48, 0
	v_mbcnt_hi_u32_b32 v1, s49, v1
	v_cmp_eq_u32_e32 vcc, 0, v1
	s_waitcnt vmcnt(0) lgkmcnt(0)
	buffer_wbinvl1_vol
	s_and_saveexec_b64 s[46:47], vcc
	s_cbranch_execz .LBB2_712
; %bb.711:                              ;   in Loop: Header=BB2_617 Depth=1
	s_bcnt1_i32_b64 vcc_lo, s[48:49]
	v_mov_b32_e32 v12, vcc_lo
	ds_add_u64 v0, v[12:13]
	s_trap 2
.LBB2_712:                              ;   in Loop: Header=BB2_617 Depth=1
	s_or_b64 exec, exec, s[46:47]
	s_trap 2
	ds_read_b64 v[4:5], v0
	v_add_co_u32_e32 v38, vcc, v38, v10
	v_addc_co_u32_e32 v39, vcc, 0, v39, vcc
	s_waitcnt lgkmcnt(0)
	v_cmp_lt_u64_e32 vcc, v[4:5], v[38:39]
	s_and_saveexec_b64 s[46:47], vcc
	s_cbranch_execz .LBB2_721
; %bb.713:                              ;   in Loop: Header=BB2_617 Depth=1
	s_mov_b32 s60, 0
	s_mov_b64 s[48:49], 0
                                        ; implicit-def: $sgpr50_sgpr51
                                        ; implicit-def: $sgpr52_sgpr53
	s_branch .LBB2_715
.LBB2_714:                              ;   in Loop: Header=BB2_715 Depth=2
	s_or_b64 exec, exec, s[56:57]
	s_and_b64 vcc, exec, vcc
	s_or_b64 s[48:49], vcc, s[48:49]
	s_andn2_b64 vcc, s[50:51], exec
	s_and_b64 s[50:51], s[52:53], exec
	s_or_b64 s[50:51], vcc, s[50:51]
	s_andn2_b64 exec, exec, s[48:49]
	s_cbranch_execz .LBB2_719
.LBB2_715:                              ;   Parent Loop BB2_617 Depth=1
                                        ; =>  This Inner Loop Header: Depth=2
	s_add_i32 s60, s60, 1
	s_cmpk_lg_i32 s60, 0x2710
	s_cselect_b64 s[54:55], -1, 0
	s_and_b64 vcc, exec, s[54:55]
                                        ; implicit-def: $sgpr56_sgpr57
	s_cbranch_vccnz .LBB2_717
; %bb.716:                              ;   in Loop: Header=BB2_715 Depth=2
	s_trap 2
	ds_read_b64 v[4:5], v0
	s_andn2_b64 s[54:55], s[54:55], exec
	s_mov_b32 s60, 0
	s_mov_b64 s[56:57], -1
	s_waitcnt lgkmcnt(0)
	flat_load_dword v1, v[4:5] glc
	s_waitcnt vmcnt(0) lgkmcnt(0)
	buffer_invl2
	buffer_wbinvl1_vol
	v_cmp_eq_u32_e32 vcc, 0, v1
	s_and_b64 vcc, vcc, exec
	s_or_b64 s[54:55], s[54:55], vcc
.LBB2_717:                              ;   in Loop: Header=BB2_715 Depth=2
	s_andn2_b64 s[52:53], s[52:53], exec
	s_and_b64 s[56:57], s[56:57], exec
	s_mov_b64 vcc, -1
	s_or_b64 s[52:53], s[52:53], s[56:57]
	s_and_saveexec_b64 s[56:57], s[54:55]
	s_cbranch_execz .LBB2_714
; %bb.718:                              ;   in Loop: Header=BB2_715 Depth=2
	s_sleep 1
	s_trap 2
	ds_read_b64 v[4:5], v0
	s_andn2_b64 s[52:53], s[52:53], exec
	s_waitcnt lgkmcnt(0)
	v_cmp_ge_u64_e32 vcc, v[4:5], v[38:39]
	s_orn2_b64 vcc, vcc, exec
	s_branch .LBB2_714
.LBB2_719:                              ;   in Loop: Header=BB2_617 Depth=1
	s_or_b64 exec, exec, s[48:49]
	s_and_saveexec_b64 vcc, s[50:51]
	s_xor_b64 vcc, exec, vcc
	s_cbranch_execz .LBB2_721
; %bb.720:                              ;   in Loop: Header=BB2_617 Depth=1
	ds_write_b32 v0, v55
	s_trap 2
.LBB2_721:                              ;   in Loop: Header=BB2_617 Depth=1
	s_or_b64 exec, exec, s[46:47]
	;;#ASMSTART
	s_wakeup
	;;#ASMEND
.LBB2_722:                              ;   in Loop: Header=BB2_617 Depth=1
	s_or_b64 exec, exec, s[44:45]
.LBB2_723:                              ;   in Loop: Header=BB2_617 Depth=1
	s_andn2_saveexec_b64 vcc, s[42:43]
	s_cbranch_execz .LBB2_725
; %bb.724:                              ;   in Loop: Header=BB2_617 Depth=1
	s_waitcnt vmcnt(0) lgkmcnt(0)
	buffer_wbinvl1_vol
	s_barrier
.LBB2_725:                              ;   in Loop: Header=BB2_617 Depth=1
	s_or_b64 exec, exec, vcc
.LBB2_726:                              ;   in Loop: Header=BB2_617 Depth=1
	s_or_b64 exec, exec, s[40:41]
	v_and_b32_e32 v1, 16, v54
	v_cmp_ne_u32_e32 vcc, 0, v1
	s_and_b64 vcc, vcc, s[20:21]
	s_and_saveexec_b64 s[20:21], vcc
	s_cbranch_execz .LBB2_728
; %bb.727:                              ;   in Loop: Header=BB2_617 Depth=1
	s_waitcnt vmcnt(0) lgkmcnt(0)
	buffer_wbinvl1_vol
.LBB2_728:                              ;   in Loop: Header=BB2_617 Depth=1
	s_or_b64 exec, exec, s[20:21]
	v_cmp_ne_u32_e32 vcc, 0, v1
	s_and_saveexec_b64 s[20:21], vcc
	s_cbranch_execz .LBB2_732
; %bb.729:                              ;   in Loop: Header=BB2_617 Depth=1
	s_and_saveexec_b64 vcc, s[18:19]
	s_cbranch_execz .LBB2_731
; %bb.730:                              ;   in Loop: Header=BB2_617 Depth=1
	v_accvgpr_read_b32 v4, a16
	v_accvgpr_read_b32 v5, a17
	flat_store_dword v[4:5], v55
.LBB2_731:                              ;   in Loop: Header=BB2_617 Depth=1
	s_or_b64 exec, exec, vcc
	v_add_co_u32_e32 v8, vcc, 1, v8
	v_addc_co_u32_e32 v9, vcc, 0, v9, vcc
	flat_store_dwordx2 v[32:33], v[8:9]
.LBB2_732:                              ;   in Loop: Header=BB2_617 Depth=1
	s_or_b64 exec, exec, s[20:21]
	v_mov_b32_e32 v1, v52
.LBB2_733:                              ;   in Loop: Header=BB2_617 Depth=1
	s_or_b64 exec, exec, s[38:39]
	s_and_saveexec_b64 s[38:39], s[36:37]
	s_cbranch_execz .LBB2_616
; %bb.734:                              ;   in Loop: Header=BB2_617 Depth=1
	v_and_b32_e32 v3, 8, v54
	v_cmp_ne_u32_e32 vcc, 0, v3
	s_mov_b64 s[36:37], -1
	s_and_saveexec_b64 s[20:21], vcc
	s_cbranch_execz .LBB2_746
; %bb.735:                              ;   in Loop: Header=BB2_617 Depth=1
	v_add_co_u32_e32 v4, vcc, 8, v36
	v_addc_co_u32_e32 v5, vcc, 0, v37, vcc
	v_add_co_u32_e32 v22, vcc, 1, v8
	v_addc_co_u32_e32 v23, vcc, 0, v9, vcc
	v_cmp_lt_u64_e32 vcc, v[4:5], v[22:23]
	v_mov_b32_e32 v3, 1
	s_and_saveexec_b64 s[36:37], vcc
	s_cbranch_execz .LBB2_745
; %bb.736:                              ;   in Loop: Header=BB2_617 Depth=1
	s_mov_b64 s[40:41], 0
	v_mov_b32_e32 v3, 0
                                        ; implicit-def: $sgpr42_sgpr43
	s_branch .LBB2_740
.LBB2_737:                              ;   in Loop: Header=BB2_740 Depth=2
	s_or_b64 exec, exec, s[50:51]
	v_mov_b32_e32 v12, 0
	s_orn2_b64 s[48:49], s[48:49], exec
.LBB2_738:                              ;   in Loop: Header=BB2_740 Depth=2
	s_or_b64 exec, exec, s[46:47]
	s_andn2_b64 vcc, s[42:43], exec
	s_and_b64 s[42:43], s[48:49], exec
	s_or_b64 s[42:43], vcc, s[42:43]
	v_mov_b32_e32 v3, v12
.LBB2_739:                              ;   in Loop: Header=BB2_740 Depth=2
	s_or_b64 exec, exec, s[44:45]
	s_waitcnt vmcnt(0) lgkmcnt(0)
	v_add_co_u32_e32 v4, vcc, 8, v36
	v_addc_co_u32_e32 v5, vcc, 0, v37, vcc
	v_cmp_ge_u64_e32 vcc, v[4:5], v[22:23]
	s_xor_b64 s[44:45], s[42:43], -1
	s_or_b64 vcc, s[44:45], vcc
	s_and_b64 vcc, exec, vcc
	s_or_b64 s[40:41], vcc, s[40:41]
	s_andn2_b64 exec, exec, s[40:41]
	s_cbranch_execz .LBB2_744
.LBB2_740:                              ;   Parent Loop BB2_617 Depth=1
                                        ; =>  This Inner Loop Header: Depth=2
	s_sleep 1
	flat_load_dwordx2 v[36:37], v[32:33] glc
	v_and_b32_e32 v4, 64, v54
	v_cmp_eq_u32_e32 vcc, 0, v4
	s_andn2_b64 s[42:43], s[42:43], exec
	s_and_saveexec_b64 s[44:45], vcc
	s_cbranch_execz .LBB2_739
; %bb.741:                              ;   in Loop: Header=BB2_740 Depth=2
	v_add_u32_e32 v12, 1, v3
	v_cmp_lt_i32_e32 vcc, s59, v3
	s_mov_b64 s[48:49], -1
	s_and_saveexec_b64 s[46:47], vcc
	s_cbranch_execz .LBB2_738
; %bb.742:                              ;   in Loop: Header=BB2_740 Depth=2
	s_trap 2
	ds_read_b64 v[4:5], v0
	s_waitcnt vmcnt(0) lgkmcnt(0)
	flat_load_dword v3, v[4:5] glc
	s_waitcnt vmcnt(0) lgkmcnt(0)
	buffer_invl2
	buffer_wbinvl1_vol
	v_cmp_ne_u32_e32 vcc, 0, v3
	s_and_saveexec_b64 s[50:51], vcc
	s_cbranch_execz .LBB2_737
; %bb.743:                              ;   in Loop: Header=BB2_740 Depth=2
	v_or_b32_e32 v54, 64, v54
	s_xor_b64 s[48:49], exec, -1
	ds_write_b32 v0, v3
	s_trap 2
	s_branch .LBB2_737
.LBB2_744:                              ;   in Loop: Header=BB2_617 Depth=1
	s_or_b64 exec, exec, s[40:41]
	v_and_b32_e32 v3, 8, v54
.LBB2_745:                              ;   in Loop: Header=BB2_617 Depth=1
	s_or_b64 exec, exec, s[36:37]
	v_cmp_eq_u32_e32 vcc, 0, v3
	s_orn2_b64 s[36:37], vcc, exec
	;;#ASMSTART
	s_wakeup
	;;#ASMEND
.LBB2_746:                              ;   in Loop: Header=BB2_617 Depth=1
	s_or_b64 exec, exec, s[20:21]
	v_sub_u32_e32 v1, v20, v1
	s_xor_b64 s[20:21], s[36:37], -1
	v_min_i32_e32 v20, v52, v1
	s_and_saveexec_b64 s[36:37], s[20:21]
	s_cbranch_execz .LBB2_756
; %bb.747:                              ;   in Loop: Header=BB2_617 Depth=1
	v_and_b32_e32 v1, 0x100, v54
	v_cmp_ne_u32_e32 vcc, 0, v1
	v_and_b32_e32 v1, 7, v8
	s_mov_b64 s[20:21], -1
                                        ; implicit-def: $vgpr22_vgpr23
	s_and_saveexec_b64 s[40:41], vcc
	s_cbranch_execz .LBB2_751
; %bb.748:                              ;   in Loop: Header=BB2_617 Depth=1
	v_mad_u64_u32 v[24:25], s[20:21], v1, 24, v[6:7]
	flat_load_dword v3, v[24:25]
	v_ashrrev_i32_e32 v21, 31, v20
	v_lshlrev_b64 v[4:5], 1, v[20:21]
	flat_store_dwordx2 v[24:25], v[4:5] offset:8
                                        ; implicit-def: $vgpr22_vgpr23
	s_waitcnt vmcnt(0) lgkmcnt(0)
	v_cmp_ne_u32_e32 vcc, 1, v3
	v_cmp_eq_u32_e64 s[20:21], 1, v3
	s_and_saveexec_b64 s[42:43], s[20:21]
	s_cbranch_execz .LBB2_750
; %bb.749:                              ;   in Loop: Header=BB2_617 Depth=1
	flat_load_dword v4, v[24:25] offset:4 glc
	s_waitcnt vmcnt(0) lgkmcnt(0)
	v_ashrrev_i32_e32 v5, 31, v4
	v_lshrrev_b64 v[22:23], 1, v[4:5]
.LBB2_750:                              ;   in Loop: Header=BB2_617 Depth=1
	s_or_b64 exec, exec, s[42:43]
	s_orn2_b64 s[20:21], vcc, exec
.LBB2_751:                              ;   in Loop: Header=BB2_617 Depth=1
	s_or_b64 exec, exec, s[40:41]
	s_and_saveexec_b64 vcc, s[20:21]
; %bb.752:                              ;   in Loop: Header=BB2_617 Depth=1
	v_accvgpr_read_b32 v4, a14
	v_mad_i64_i32 v[22:23], s[20:21], v1, v4, 0
; %bb.753:                              ;   in Loop: Header=BB2_617 Depth=1
	s_or_b64 exec, exec, vcc
	v_lshlrev_b64 v[4:5], 1, v[22:23]
	v_add_co_u32_e32 v4, vcc, v34, v4
	v_addc_co_u32_e32 v5, vcc, v35, v5, vcc
	v_and_b32_e32 v1, 0x2000, v54
	v_cmp_ne_u32_e32 vcc, 0, v1
	ds_write_b64 v0, v[4:5] offset:784
	s_and_saveexec_b64 s[20:21], vcc
	s_cbranch_execz .LBB2_755
; %bb.754:                              ;   in Loop: Header=BB2_617 Depth=1
	ds_read_b64 v[4:5], v0 offset:584
	s_waitcnt lgkmcnt(0)
	v_add_co_u32_e32 v4, vcc, 1, v4
	v_addc_co_u32_e32 v5, vcc, 0, v5, vcc
	ds_write_b64 v0, v[4:5] offset:584
.LBB2_755:                              ;   in Loop: Header=BB2_617 Depth=1
	s_or_b64 exec, exec, s[20:21]
	v_add_co_u32_e32 v8, vcc, 1, v8
	v_addc_co_u32_e32 v9, vcc, 0, v9, vcc
.LBB2_756:                              ;   in Loop: Header=BB2_617 Depth=1
	s_or_b64 exec, exec, s[36:37]
	s_and_saveexec_b64 s[20:21], s[10:11]
	s_cbranch_execz .LBB2_775
; %bb.757:                              ;   in Loop: Header=BB2_617 Depth=1
	s_and_saveexec_b64 vcc, s[30:31]
	s_xor_b64 s[36:37], exec, vcc
	s_cbranch_execz .LBB2_772
; %bb.758:                              ;   in Loop: Header=BB2_617 Depth=1
	s_and_saveexec_b64 s[40:41], s[12:13]
	s_cbranch_execz .LBB2_771
; %bb.759:                              ;   in Loop: Header=BB2_617 Depth=1
	s_mov_b64 s[44:45], exec
	v_mbcnt_lo_u32_b32 v1, s44, 0
	v_mbcnt_hi_u32_b32 v1, s45, v1
	v_cmp_eq_u32_e32 vcc, 0, v1
	s_waitcnt vmcnt(0) lgkmcnt(0)
	buffer_wbinvl1_vol
	s_and_saveexec_b64 s[42:43], vcc
	s_cbranch_execz .LBB2_761
; %bb.760:                              ;   in Loop: Header=BB2_617 Depth=1
	s_bcnt1_i32_b64 vcc_lo, s[44:45]
	v_mov_b32_e32 v12, vcc_lo
	ds_add_u64 v0, v[12:13]
	s_trap 2
.LBB2_761:                              ;   in Loop: Header=BB2_617 Depth=1
	s_or_b64 exec, exec, s[42:43]
	s_trap 2
	ds_read_b64 v[4:5], v0
	v_add_co_u32_e32 v38, vcc, v38, v10
	v_addc_co_u32_e32 v39, vcc, 0, v39, vcc
	s_waitcnt lgkmcnt(0)
	v_cmp_lt_u64_e32 vcc, v[4:5], v[38:39]
	s_and_saveexec_b64 s[42:43], vcc
	s_cbranch_execz .LBB2_770
; %bb.762:                              ;   in Loop: Header=BB2_617 Depth=1
	s_mov_b32 s54, 0
	s_mov_b64 s[44:45], 0
                                        ; implicit-def: $sgpr46_sgpr47
                                        ; implicit-def: $sgpr48_sgpr49
	s_branch .LBB2_764
.LBB2_763:                              ;   in Loop: Header=BB2_764 Depth=2
	s_or_b64 exec, exec, s[52:53]
	s_and_b64 vcc, exec, vcc
	s_or_b64 s[44:45], vcc, s[44:45]
	s_andn2_b64 vcc, s[46:47], exec
	s_and_b64 s[46:47], s[48:49], exec
	s_or_b64 s[46:47], vcc, s[46:47]
	s_andn2_b64 exec, exec, s[44:45]
	s_cbranch_execz .LBB2_768
.LBB2_764:                              ;   Parent Loop BB2_617 Depth=1
                                        ; =>  This Inner Loop Header: Depth=2
	s_add_i32 s54, s54, 1
	s_cmpk_lg_i32 s54, 0x2710
	s_cselect_b64 s[50:51], -1, 0
	s_and_b64 vcc, exec, s[50:51]
                                        ; implicit-def: $sgpr52_sgpr53
	s_cbranch_vccnz .LBB2_766
; %bb.765:                              ;   in Loop: Header=BB2_764 Depth=2
	s_trap 2
	ds_read_b64 v[4:5], v0
	s_andn2_b64 s[50:51], s[50:51], exec
	s_mov_b32 s54, 0
	s_mov_b64 s[52:53], -1
	s_waitcnt lgkmcnt(0)
	flat_load_dword v1, v[4:5] glc
	s_waitcnt vmcnt(0) lgkmcnt(0)
	buffer_invl2
	buffer_wbinvl1_vol
	v_cmp_eq_u32_e32 vcc, 0, v1
	s_and_b64 vcc, vcc, exec
	s_or_b64 s[50:51], s[50:51], vcc
.LBB2_766:                              ;   in Loop: Header=BB2_764 Depth=2
	s_andn2_b64 s[48:49], s[48:49], exec
	s_and_b64 s[52:53], s[52:53], exec
	s_mov_b64 vcc, -1
	s_or_b64 s[48:49], s[48:49], s[52:53]
	s_and_saveexec_b64 s[52:53], s[50:51]
	s_cbranch_execz .LBB2_763
; %bb.767:                              ;   in Loop: Header=BB2_764 Depth=2
	s_sleep 1
	s_trap 2
	ds_read_b64 v[4:5], v0
	s_andn2_b64 s[48:49], s[48:49], exec
	s_waitcnt lgkmcnt(0)
	v_cmp_ge_u64_e32 vcc, v[4:5], v[38:39]
	s_orn2_b64 vcc, vcc, exec
	s_branch .LBB2_763
.LBB2_768:                              ;   in Loop: Header=BB2_617 Depth=1
	s_or_b64 exec, exec, s[44:45]
	s_and_saveexec_b64 vcc, s[46:47]
	s_xor_b64 vcc, exec, vcc
	s_cbranch_execz .LBB2_770
; %bb.769:                              ;   in Loop: Header=BB2_617 Depth=1
	ds_write_b32 v0, v55
	s_trap 2
.LBB2_770:                              ;   in Loop: Header=BB2_617 Depth=1
	s_or_b64 exec, exec, s[42:43]
	;;#ASMSTART
	s_wakeup
	;;#ASMEND
.LBB2_771:                              ;   in Loop: Header=BB2_617 Depth=1
	s_or_b64 exec, exec, s[40:41]
.LBB2_772:                              ;   in Loop: Header=BB2_617 Depth=1
	s_andn2_saveexec_b64 vcc, s[36:37]
	s_cbranch_execz .LBB2_774
; %bb.773:                              ;   in Loop: Header=BB2_617 Depth=1
	s_waitcnt vmcnt(0) lgkmcnt(0)
	buffer_wbinvl1_vol
	s_barrier
.LBB2_774:                              ;   in Loop: Header=BB2_617 Depth=1
	s_or_b64 exec, exec, vcc
.LBB2_775:                              ;   in Loop: Header=BB2_617 Depth=1
	s_or_b64 exec, exec, s[20:21]
	s_trap 2
	ds_read_b32 v3, v0
	v_cmp_lt_i32_e32 vcc, 0, v20
	v_and_b32_e32 v1, 16, v54
	s_waitcnt lgkmcnt(0)
	v_readfirstlane_b32 s20, v3
	s_cmp_eq_u32 s20, 0
	s_cselect_b64 s[20:21], -1, 0
	s_and_b64 s[20:21], vcc, s[20:21]
	v_cmp_ne_u32_e32 vcc, 0, v1
	s_and_b64 vcc, vcc, s[20:21]
	s_and_saveexec_b64 s[20:21], vcc
	s_cbranch_execz .LBB2_777
; %bb.776:                              ;   in Loop: Header=BB2_617 Depth=1
	s_waitcnt vmcnt(0)
	buffer_wbinvl1_vol
.LBB2_777:                              ;   in Loop: Header=BB2_617 Depth=1
	s_or_b64 exec, exec, s[20:21]
	v_cmp_ne_u32_e32 vcc, 0, v1
	s_and_saveexec_b64 s[20:21], vcc
	s_cbranch_execz .LBB2_615
; %bb.778:                              ;   in Loop: Header=BB2_617 Depth=1
	s_and_saveexec_b64 vcc, s[18:19]
	s_cbranch_execz .LBB2_614
; %bb.779:                              ;   in Loop: Header=BB2_617 Depth=1
	v_accvgpr_read_b32 v4, a16
	v_accvgpr_read_b32 v5, a17
	flat_store_dword v[4:5], v55
	s_branch .LBB2_614
.LBB2_780:
	s_or_b64 exec, exec, s[28:29]
.LBB2_781:
	s_or_b64 exec, exec, s[26:27]
.LBB2_782:
	s_or_b64 exec, exec, s[22:23]
	v_and_b32_e32 v0, 0x800, v54
	v_cmp_eq_u32_e32 vcc, 0, v0
	s_and_saveexec_b64 s[4:5], vcc
	s_cbranch_execz .LBB2_817
; %bb.783:
	v_and_b32_e32 v0, 48, v54
	v_cmp_ne_u32_e32 vcc, 0, v0
	s_and_saveexec_b64 s[6:7], vcc
	s_cbranch_execz .LBB2_785
; %bb.784:
	s_waitcnt vmcnt(0) lgkmcnt(0)
	flat_store_dwordx2 v[60:61], v[8:9] offset:104
.LBB2_785:
	s_or_b64 exec, exec, s[6:7]
	s_movk_i32 s6, 0x88
	v_and_b32_e32 v0, 0x88, v54
	v_cmp_eq_u32_e32 vcc, s6, v0
	s_and_saveexec_b64 s[6:7], vcc
	s_cbranch_execz .LBB2_797
; %bb.786:
	s_waitcnt vmcnt(0) lgkmcnt(0)
	v_add_u32_e32 v0, -1, v8
	v_and_b32_e32 v0, 7, v0
	v_mad_u64_u32 v[0:1], s[10:11], v0, 24, v[6:7]
	v_add_co_u32_e32 v2, vcc, 8, v0
	v_addc_co_u32_e32 v3, vcc, 0, v1, vcc
	s_mov_b64 s[10:11], 0
	v_mov_b32_e32 v0, 0
	s_movk_i32 s26, 0x270e
                                        ; implicit-def: $sgpr12_sgpr13
	s_branch .LBB2_791
.LBB2_787:                              ;   in Loop: Header=BB2_791 Depth=1
	s_or_b64 exec, exec, s[22:23]
	v_mov_b32_e32 v1, 0
	s_orn2_b64 s[20:21], s[20:21], exec
.LBB2_788:                              ;   in Loop: Header=BB2_791 Depth=1
	s_or_b64 exec, exec, s[18:19]
	s_and_b64 s[18:19], s[20:21], exec
	v_mov_b32_e32 v0, v1
.LBB2_789:                              ;   in Loop: Header=BB2_791 Depth=1
	s_or_b64 exec, exec, s[16:17]
	s_xor_b64 s[16:17], s[18:19], -1
	s_andn2_b64 s[12:13], s[12:13], exec
	s_and_b64 s[16:17], s[16:17], exec
	s_or_b64 s[12:13], s[12:13], s[16:17]
.LBB2_790:                              ;   in Loop: Header=BB2_791 Depth=1
	s_or_b64 exec, exec, s[14:15]
	s_and_b64 s[14:15], exec, s[12:13]
	s_or_b64 s[10:11], s[14:15], s[10:11]
	s_andn2_b64 exec, exec, s[10:11]
	s_cbranch_execz .LBB2_796
.LBB2_791:                              ; =>This Inner Loop Header: Depth=1
	flat_load_dwordx2 v[4:5], v[2:3] glc
	s_waitcnt vmcnt(0)
	s_or_b64 s[12:13], s[12:13], exec
	s_waitcnt lgkmcnt(0)
	v_cmp_ne_u64_e32 vcc, -1, v[4:5]
	s_and_saveexec_b64 s[14:15], vcc
	s_cbranch_execz .LBB2_790
; %bb.792:                              ;   in Loop: Header=BB2_791 Depth=1
	v_and_b32_e32 v1, 64, v54
	v_cmp_eq_u32_e32 vcc, 0, v1
	s_mov_b64 s[18:19], 0
	s_and_saveexec_b64 s[16:17], vcc
	s_cbranch_execz .LBB2_789
; %bb.793:                              ;   in Loop: Header=BB2_791 Depth=1
	v_add_u32_e32 v1, 1, v0
	v_cmp_lt_i32_e32 vcc, s26, v0
	s_mov_b64 s[20:21], -1
	s_and_saveexec_b64 s[18:19], vcc
	s_cbranch_execz .LBB2_788
; %bb.794:                              ;   in Loop: Header=BB2_791 Depth=1
	s_trap 2
	ds_read_b64 v[0:1], v0
	s_waitcnt lgkmcnt(0)
	flat_load_dword v0, v[0:1] glc
	s_waitcnt vmcnt(0) lgkmcnt(0)
	buffer_invl2
	buffer_wbinvl1_vol
	v_cmp_ne_u32_e32 vcc, 0, v0
	s_and_saveexec_b64 s[22:23], vcc
	s_cbranch_execz .LBB2_787
; %bb.795:                              ;   in Loop: Header=BB2_791 Depth=1
	v_or_b32_e32 v54, 64, v54
	s_xor_b64 s[20:21], exec, -1
	ds_write_b32 v0, v0
	s_trap 2
	s_branch .LBB2_787
.LBB2_796:
	s_or_b64 exec, exec, s[10:11]
.LBB2_797:
	s_or_b64 exec, exec, s[6:7]
	v_and_b32_e32 v0, 0x2000, v54
	v_cmp_ne_u32_e32 vcc, 0, v0
	s_and_saveexec_b64 s[6:7], vcc
	s_cbranch_execz .LBB2_799
; %bb.798:
	s_trap 2
	ds_read_b64 v[0:1], v0
	v_accvgpr_read_b32 v2, a6
	v_accvgpr_read_b32 v3, a7
	s_waitcnt lgkmcnt(0)
	flat_store_dwordx2 v[2:3], v[0:1] offset:16
.LBB2_799:
	s_or_b64 exec, exec, s[6:7]
	v_cmp_ne_u32_e32 vcc, 64, v56
	s_and_b64 exec, exec, vcc
	s_cbranch_execz .LBB2_817
; %bb.800:
	s_waitcnt vmcnt(0)
	v_cmp_ne_u32_sdwa s[6:7], v58, v56 src0_sel:WORD_0 src1_sel:DWORD
	s_and_saveexec_b64 s[10:11], s[6:7]
	s_xor_b64 s[6:7], exec, s[10:11]
	s_cbranch_execz .LBB2_815
; %bb.801:
	v_and_b32_e32 v0, 63, v31
	v_cmp_eq_u32_e32 vcc, 0, v0
	s_and_saveexec_b64 s[10:11], vcc
	s_cbranch_execz .LBB2_814
; %bb.802:
	s_mov_b64 s[14:15], exec
	v_mbcnt_lo_u32_b32 v0, s14, 0
	v_mbcnt_hi_u32_b32 v0, s15, v0
	v_cmp_eq_u32_e32 vcc, 0, v0
	s_waitcnt lgkmcnt(0)
	buffer_wbinvl1_vol
	s_and_saveexec_b64 s[12:13], vcc
	s_cbranch_execz .LBB2_804
; %bb.803:
	s_bcnt1_i32_b64 s14, s[14:15]
	v_mov_b32_e32 v0, s14
	v_mov_b32_e32 v1, 0
	ds_add_u64 v0, v[0:1]
	s_trap 2
.LBB2_804:
	s_or_b64 exec, exec, s[12:13]
	v_ashrrev_i32_e32 v0, 31, v56
	v_lshrrev_b32_e32 v0, 26, v0
	v_add_u32_e32 v0, v56, v0
	v_ashrrev_i32_e32 v0, 6, v0
	s_trap 2
	ds_read_b64 v[2:3], v0
	v_ashrrev_i32_e32 v1, 31, v0
	v_add_co_u32_e32 v0, vcc, v38, v0
	v_addc_co_u32_e32 v1, vcc, v39, v1, vcc
	s_waitcnt lgkmcnt(0)
	v_cmp_lt_u64_e32 vcc, v[2:3], v[0:1]
	s_and_saveexec_b64 s[12:13], vcc
	s_cbranch_execz .LBB2_813
; %bb.805:
	s_mov_b32 s28, 0
	s_mov_b64 s[14:15], 0
                                        ; implicit-def: $sgpr16_sgpr17
                                        ; implicit-def: $sgpr18_sgpr19
	s_branch .LBB2_807
.LBB2_806:                              ;   in Loop: Header=BB2_807 Depth=1
	s_or_b64 exec, exec, s[26:27]
	s_and_b64 s[20:21], exec, s[22:23]
	s_or_b64 s[14:15], s[20:21], s[14:15]
	s_andn2_b64 s[16:17], s[16:17], exec
	s_and_b64 s[20:21], s[18:19], exec
	s_or_b64 s[16:17], s[16:17], s[20:21]
	s_andn2_b64 exec, exec, s[14:15]
	s_cbranch_execz .LBB2_811
.LBB2_807:                              ; =>This Inner Loop Header: Depth=1
	s_add_i32 s28, s28, 1
	s_cmpk_lg_i32 s28, 0x2710
	s_cselect_b64 s[20:21], -1, 0
	s_and_b64 vcc, exec, s[20:21]
                                        ; implicit-def: $sgpr26_sgpr27
	s_cbranch_vccnz .LBB2_809
; %bb.808:                              ;   in Loop: Header=BB2_807 Depth=1
	s_trap 2
	ds_read_b64 v[2:3], v0
	s_andn2_b64 s[20:21], s[20:21], exec
	s_mov_b32 s28, 0
	s_mov_b64 s[26:27], -1
	s_waitcnt lgkmcnt(0)
	flat_load_dword v2, v[2:3] glc
	s_waitcnt vmcnt(0) lgkmcnt(0)
	buffer_invl2
	buffer_wbinvl1_vol
	v_cmp_eq_u32_e32 vcc, 0, v2
	s_and_b64 s[22:23], vcc, exec
	s_or_b64 s[20:21], s[20:21], s[22:23]
.LBB2_809:                              ;   in Loop: Header=BB2_807 Depth=1
	s_andn2_b64 s[18:19], s[18:19], exec
	s_and_b64 s[26:27], s[26:27], exec
	s_mov_b64 s[22:23], -1
	s_or_b64 s[18:19], s[18:19], s[26:27]
	s_and_saveexec_b64 s[26:27], s[20:21]
	s_cbranch_execz .LBB2_806
; %bb.810:                              ;   in Loop: Header=BB2_807 Depth=1
	s_sleep 1
	s_trap 2
	ds_read_b64 v[2:3], v0
	s_andn2_b64 s[18:19], s[18:19], exec
	s_waitcnt lgkmcnt(0)
	v_cmp_ge_u64_e32 vcc, v[2:3], v[0:1]
	s_orn2_b64 s[22:23], vcc, exec
	s_branch .LBB2_806
.LBB2_811:
	s_or_b64 exec, exec, s[14:15]
	s_and_saveexec_b64 s[14:15], s[16:17]
	s_xor_b64 s[14:15], exec, s[14:15]
	s_cbranch_execz .LBB2_813
; %bb.812:
	v_mov_b32_e32 v0, 1
	ds_write_b32 v0, v0
	s_trap 2
.LBB2_813:
	s_or_b64 exec, exec, s[12:13]
	;;#ASMSTART
	s_wakeup
	;;#ASMEND
.LBB2_814:
	s_or_b64 exec, exec, s[10:11]
.LBB2_815:
	s_andn2_saveexec_b64 s[6:7], s[6:7]
	s_cbranch_execz .LBB2_817
; %bb.816:
	s_waitcnt lgkmcnt(0)
	buffer_wbinvl1_vol
	s_barrier
.LBB2_817:
	s_or_b64 exec, exec, s[4:5]
.LBB2_818:
	s_andn2_saveexec_b64 s[26:27], s[24:25]
	s_cbranch_execz .LBB2_820
; %bb.819:
	s_getpc_b64 s[4:5]
	s_add_u32 s4, s4, __PRETTY_FUNCTION__._ZN10PrimitivesI12hip_bfloat167FuncSumIS0_E12FanSymmetricILi1EELi0E11ProtoSimpleILi1ELi1ELi0ELi1ELi0ELi0EELi0ELb0ELi0ELi0ELi0EEC2EiiPKiS9_PKvPvmhhhP15ncclDevWorkCollP14ncclDevWorkP2pii@rel32@lo+4
	s_addc_u32 s5, s5, __PRETTY_FUNCTION__._ZN10PrimitivesI12hip_bfloat167FuncSumIS0_E12FanSymmetricILi1EELi0E11ProtoSimpleILi1ELi1ELi0ELi1ELi0ELi0EELi0ELb0ELi0ELi0ELi0EEC2EiiPKiS9_PKvPvmhhhP15ncclDevWorkCollP14ncclDevWorkP2pii@rel32@hi+12
	v_mov_b32_e32 v0, s4
	v_mov_b32_e32 v1, s5
	s_getpc_b64 s[6:7]
	s_add_u32 s6, s6, __assert_fail@rel32@lo+4
	s_addc_u32 s7, s7, __assert_fail@rel32@hi+12
	s_swappc_b64 s[30:31], s[6:7]
	; divergent unreachable
.LBB2_820:
	s_or_b64 exec, exec, s[26:27]
	buffer_load_dword v62, off, s[0:3], s33 ; 4-byte Folded Reload
	buffer_load_dword v61, off, s[0:3], s33 offset:4 ; 4-byte Folded Reload
	buffer_load_dword v60, off, s[0:3], s33 offset:8 ; 4-byte Folded Reload
	;; [unrolled: 1-line block ×7, first 2 shown]
	v_readlane_b32 s30, v63, 36
	v_readlane_b32 s31, v63, 37
	;; [unrolled: 1-line block ×38, first 2 shown]
	v_accvgpr_read_b32 v46, a31             ;  Reload Reuse
	v_accvgpr_read_b32 v45, a30             ;  Reload Reuse
	;; [unrolled: 1-line block ×7, first 2 shown]
	v_readlane_b32 s4, v63, 38
	s_or_saveexec_b64 s[6:7], -1
	buffer_load_dword v63, off, s[0:3], s33 offset:32 ; 4-byte Folded Reload
	s_mov_b64 exec, s[6:7]
	s_addk_i32 s32, 0xf400
	s_mov_b32 s33, s4
	s_waitcnt vmcnt(0) lgkmcnt(0)
	s_setpc_b64 s[30:31]
.Lfunc_end2:
	.size	_ZN12_GLOBAL__N_17runRingI12hip_bfloat167FuncSumIS1_E11ProtoSimpleILi1ELi1ELi0ELi1ELi0ELi0EELi0ELi1ELi0EEEviiP15ncclDevWorkColl, .Lfunc_end2-_ZN12_GLOBAL__N_17runRingI12hip_bfloat167FuncSumIS1_E11ProtoSimpleILi1ELi1ELi0ELi1ELi0ELi0EELi0ELi1ELi0EEEviiP15ncclDevWorkColl
                                        ; -- End function
	.section	.AMDGPU.csdata,"",@progbits
; Function info:
; codeLenInByte = 24772
; NumSgprs: 74
; NumVgprs: 64
; NumAgprs: 32
; TotalNumVgprs: 96
; ScratchSize: 112
; MemoryBound: 1
	.text
	.p2align	2                               ; -- Begin function _Z45ncclDevFunc_Reduce_RING_SIMPLE_Sum_bf16_0_0_1v
	.type	_Z45ncclDevFunc_Reduce_RING_SIMPLE_Sum_bf16_0_0_1v,@function
_Z45ncclDevFunc_Reduce_RING_SIMPLE_Sum_bf16_0_0_1v: ; @_Z45ncclDevFunc_Reduce_RING_SIMPLE_Sum_bf16_0_0_1v
; %bb.0:
	s_waitcnt vmcnt(0) expcnt(0) lgkmcnt(0)
	s_mov_b32 s4, s33
	s_mov_b32 s33, s32
	s_or_saveexec_b64 s[6:7], -1
	buffer_store_dword v43, off, s[0:3], s33 offset:16 ; 4-byte Folded Spill
	s_mov_b64 exec, s[6:7]
	v_writelane_b32 v43, s4, 46
	s_addk_i32 s32, 0x800
	buffer_store_dword v40, off, s[0:3], s33 offset:12 ; 4-byte Folded Spill
	buffer_store_dword v41, off, s[0:3], s33 offset:8 ; 4-byte Folded Spill
	;; [unrolled: 1-line block ×3, first 2 shown]
	buffer_store_dword v63, off, s[0:3], s33 ; 4-byte Folded Spill
	v_writelane_b32 v43, s34, 0
	v_writelane_b32 v43, s35, 1
	;; [unrolled: 1-line block ×46, first 2 shown]
	s_trap 2
	ds_read_b32 v0, v0
	v_mov_b32_e32 v40, v31
	s_mov_b32 s72, s12
	s_mov_b64 s[70:71], s[8:9]
	s_waitcnt lgkmcnt(0)
	v_cmp_gt_i32_e32 vcc, 1, v0
	s_cbranch_vccnz .LBB3_8
; %bb.1:
	s_mov_b32 s73, 0
	v_and_b32_e32 v41, 0x3ff, v40
	s_mov_b64 s[74:75], src_shared_base
	v_mov_b32_e32 v42, 6
	s_branch .LBB3_3
.LBB3_2:                                ;   in Loop: Header=BB3_3 Depth=1
	s_or_b64 exec, exec, s[76:77]
	s_trap 2
	ds_read_b32 v0, v0
	s_add_i32 s73, s73, 1
	s_waitcnt lgkmcnt(0)
	v_cmp_lt_i32_e32 vcc, s73, v0
	s_cbranch_vccz .LBB3_8
.LBB3_3:                                ; =>This Inner Loop Header: Depth=1
	s_trap 2
	ds_read_b32 v0, v0
	s_cmp_eq_u32 s73, 0
	s_cbranch_scc1 .LBB3_6
; %bb.4:                                ;   in Loop: Header=BB3_3 Depth=1
	s_trap 2
	s_waitcnt lgkmcnt(0)
	ds_read_b32 v1, v0
	s_waitcnt lgkmcnt(0)
	v_xor_b32_e32 v1, v1, v0
	v_and_b32_e32 v1, 0xff0000, v1
	v_cmp_eq_u32_e32 vcc, 0, v1
	s_cbranch_vccnz .LBB3_6
; %bb.5:                                ;   in Loop: Header=BB3_3 Depth=1
	s_barrier
	ds_read_b32 v0, v0
.LBB3_6:                                ;   in Loop: Header=BB3_3 Depth=1
	s_waitcnt lgkmcnt(0)
	v_lshlrev_b32_sdwa v1, v42, v0 dst_sel:DWORD dst_unused:UNUSED_PAD src0_sel:DWORD src1_sel:BYTE_2
	v_cmp_lt_u32_e32 vcc, v41, v1
	s_and_saveexec_b64 s[76:77], vcc
	s_cbranch_execz .LBB3_2
; %bb.7:                                ;   in Loop: Header=BB3_3 Depth=1
	s_mov_b64 s[8:9], s[70:71]
	s_mov_b32 s12, s72
	v_mov_b32_e32 v31, v40
	v_mov_b32_e32 v0, v41
	v_mov_b32_e32 v3, s75
	s_getpc_b64 s[4:5]
	s_add_u32 s4, s4, _ZN12_GLOBAL__N_17runRingI12hip_bfloat167FuncSumIS1_E11ProtoSimpleILi1ELi1ELi0ELi1ELi0ELi0EELi0ELi1ELi0EEEviiP15ncclDevWorkColl@rel32@lo+4
	s_addc_u32 s5, s5, _ZN12_GLOBAL__N_17runRingI12hip_bfloat167FuncSumIS1_E11ProtoSimpleILi1ELi1ELi0ELi1ELi0ELi0EELi0ELi1ELi0EEEviiP15ncclDevWorkColl@rel32@hi+12
	s_swappc_b64 s[30:31], s[4:5]
	s_branch .LBB3_2
.LBB3_8:
	buffer_load_dword v63, off, s[0:3], s33 ; 4-byte Folded Reload
	buffer_load_dword v42, off, s[0:3], s33 offset:4 ; 4-byte Folded Reload
	buffer_load_dword v41, off, s[0:3], s33 offset:8 ; 4-byte Folded Reload
	;; [unrolled: 1-line block ×3, first 2 shown]
	v_readlane_b32 s30, v43, 44
	v_readlane_b32 s31, v43, 45
	;; [unrolled: 1-line block ×47, first 2 shown]
	s_or_saveexec_b64 s[6:7], -1
	buffer_load_dword v43, off, s[0:3], s33 offset:16 ; 4-byte Folded Reload
	s_mov_b64 exec, s[6:7]
	s_addk_i32 s32, 0xf800
	s_mov_b32 s33, s4
	s_waitcnt vmcnt(0)
	s_setpc_b64 s[30:31]
.Lfunc_end3:
	.size	_Z45ncclDevFunc_Reduce_RING_SIMPLE_Sum_bf16_0_0_1v, .Lfunc_end3-_Z45ncclDevFunc_Reduce_RING_SIMPLE_Sum_bf16_0_0_1v
                                        ; -- End function
	.section	.AMDGPU.csdata,"",@progbits
; Function info:
; codeLenInByte = 1116
; NumSgprs: 82
; NumVgprs: 64
; NumAgprs: 32
; TotalNumVgprs: 96
; ScratchSize: 144
; MemoryBound: 0
	.text
	.p2align	2                               ; -- Begin function _ZN12_GLOBAL__N_17runRingI12hip_bfloat167FuncSumIS1_E11ProtoSimpleILi1ELi1ELi0ELi1ELi0ELi0EELi0ELi1ELi1EEEviiP15ncclDevWorkColl
	.type	_ZN12_GLOBAL__N_17runRingI12hip_bfloat167FuncSumIS1_E11ProtoSimpleILi1ELi1ELi0ELi1ELi0ELi0EELi0ELi1ELi1EEEviiP15ncclDevWorkColl,@function
_ZN12_GLOBAL__N_17runRingI12hip_bfloat167FuncSumIS1_E11ProtoSimpleILi1ELi1ELi0ELi1ELi0ELi0EELi0ELi1ELi1EEEviiP15ncclDevWorkColl: ; @_ZN12_GLOBAL__N_17runRingI12hip_bfloat167FuncSumIS1_E11ProtoSimpleILi1ELi1ELi0ELi1ELi0ELi0EELi0ELi1ELi1EEEviiP15ncclDevWorkColl
; %bb.0:
	s_waitcnt vmcnt(0) expcnt(0) lgkmcnt(0)
	s_mov_b32 s4, s33
	s_mov_b32 s33, s32
	s_or_saveexec_b64 s[6:7], -1
	buffer_store_dword v63, off, s[0:3], s33 offset:224 ; 4-byte Folded Spill
	s_mov_b64 exec, s[6:7]
	v_writelane_b32 v63, s4, 41
	s_addk_i32 s32, 0x3c00
	buffer_store_dword v40, off, s[0:3], s33 offset:148 ; 4-byte Folded Spill
	buffer_store_dword v41, off, s[0:3], s33 offset:144 ; 4-byte Folded Spill
	;; [unrolled: 1-line block ×37, first 2 shown]
	buffer_store_dword a54, off, s[0:3], s33 ; 4-byte Folded Spill
	v_writelane_b32 v63, s34, 0
	v_writelane_b32 v63, s35, 1
	;; [unrolled: 1-line block ×41, first 2 shown]
	s_trap 2
	ds_read_b64 v[14:15], v0
	ds_read_b32 v5, v0
	v_mov_b32_e32 v56, v1
	flat_load_ushort v17, v[2:3] offset:8
	flat_load_dwordx2 v[8:9], v[2:3]
                                        ; implicit-def: $vgpr18_vgpr19
                                        ; implicit-def: $vgpr20_vgpr21
                                        ; implicit-def: $agpr4_agpr5
	s_waitcnt lgkmcnt(0)
	v_ashrrev_i32_e32 v7, 31, v15
	v_mov_b32_e32 v6, v15
	v_lshlrev_b64 v[6:7], 2, v[6:7]
	v_add_co_u32_e32 v1, vcc, v14, v6
	v_addc_co_u32_e32 v4, vcc, v15, v7, vcc
	v_add_co_u32_e32 v6, vcc, -4, v1
	v_addc_co_u32_e32 v7, vcc, -1, v4, vcc
	flat_load_dword v4, v[6:7]
	s_waitcnt vmcnt(0)
	v_mov_b32_e32 v16, v9
	v_cmp_ne_u32_sdwa s[4:5], v8, v5 src0_sel:BYTE_0 src1_sel:DWORD
	s_and_saveexec_b64 s[6:7], s[4:5]
	s_xor_b64 s[4:5], exec, s[6:7]
	s_cbranch_execz .LBB4_6
; %bb.1:
	v_not_b32_sdwa v1, v8 dst_sel:DWORD dst_unused:UNUSED_PAD src0_sel:BYTE_0
	v_cmp_ne_u32_sdwa s[6:7], v8, v5 src0_sel:BYTE_1 src1_sel:DWORD
                                        ; implicit-def: $vgpr18_vgpr19
                                        ; implicit-def: $vgpr20_vgpr21
                                        ; implicit-def: $agpr4_agpr5
	s_and_saveexec_b64 s[10:11], s[6:7]
	s_xor_b64 s[6:7], exec, s[10:11]
	s_cbranch_execz .LBB4_3
; %bb.2:
	flat_load_dwordx4 v[6:9], v[2:3] offset:72
	flat_load_dwordx2 v[10:11], v[2:3] offset:96
	v_add_u32_e32 v1, v5, v1
	v_ashrrev_i32_e32 v5, 31, v1
	s_waitcnt vmcnt(0) lgkmcnt(0)
	v_mul_lo_u32 v5, v8, v5
	v_mad_u64_u32 v[6:7], s[10:11], v8, v1, v[6:7]
	v_mul_lo_u32 v1, v9, v1
	v_add3_u32 v7, v1, v7, v5
	v_accvgpr_write_b32 a4, v6
	v_lshrrev_b64 v[18:19], 13, v[10:11]
	v_accvgpr_write_b32 a5, v7
	v_pk_mov_b32 v[20:21], v[8:9], v[8:9] op_sel:[0,1]
                                        ; implicit-def: $vgpr8
                                        ; implicit-def: $vgpr1
.LBB4_3:
	s_andn2_saveexec_b64 s[6:7], s[6:7]
	s_cbranch_execz .LBB4_5
; %bb.4:
	flat_load_dwordx4 v[10:13], v[2:3] offset:72
	flat_load_dwordx4 v[20:23], v[2:3] offset:88
	v_add_u32_sdwa v1, v8, v1 dst_sel:DWORD dst_unused:UNUSED_PAD src0_sel:BYTE_1 src1_sel:DWORD
	v_ashrrev_i32_e32 v5, 31, v1
	s_waitcnt vmcnt(0) lgkmcnt(0)
	v_mul_lo_u32 v5, v12, v5
	v_mad_u64_u32 v[6:7], s[10:11], v12, v1, v[10:11]
	v_mul_lo_u32 v1, v13, v1
	v_add3_u32 v7, v1, v7, v5
	v_accvgpr_write_b32 a4, v6
	v_accvgpr_write_b32 a5, v7
	v_lshrrev_b32_e32 v18, 2, v23
.LBB4_5:
	s_or_b64 exec, exec, s[6:7]
.LBB4_6:
	s_andn2_saveexec_b64 s[4:5], s[4:5]
	s_cbranch_execz .LBB4_8
; %bb.7:
	flat_load_dwordx2 v[6:7], v[2:3] offset:96
	flat_load_dwordx2 v[20:21], v[2:3] offset:72
	s_waitcnt vmcnt(0) lgkmcnt(0)
	v_lshlrev_b64 v[18:19], 8, v[6:7]
	v_pk_mov_b32 v[6:7], 0, 0
	v_accvgpr_write_b32 a4, v6
	v_accvgpr_write_b32 a5, v7
.LBB4_8:
	s_or_b64 exec, exec, s[4:5]
	s_trap 2
	ds_read_b64 v[6:7], v0
	s_waitcnt lgkmcnt(0)
	v_cmp_ne_u32_e32 vcc, -1, v6
	v_cndmask_b32_e64 v1, 0, 1, vcc
	v_cmp_ne_u32_e32 vcc, -1, v7
	v_addc_co_u32_e64 v5, s[4:5], 0, v1, vcc
	v_lshlrev_b32_e32 v6, 1, v5
	v_cmp_le_i32_e64 s[4:5], v6, v56
	s_and_saveexec_b64 s[6:7], s[4:5]
	s_xor_b64 s[28:29], exec, s[6:7]
	s_cbranch_execz .LBB4_1349
; %bb.9:
	v_accvgpr_write_b32 a2, v20
	v_accvgpr_write_b32 a3, v21
	flat_load_dwordx4 v[10:13], v[2:3] offset:16
	flat_load_dwordx2 v[20:21], v[2:3] offset:104
	s_trap 2
	s_load_dword s4, s[8:9], 0x0
	v_mov_b32_e32 v2, 0
	v_mov_b32_e32 v62, 4
	s_waitcnt lgkmcnt(0)
	s_cmp_lt_u32 s12, s4
	s_cselect_b32 s4, 12, 18
	s_add_u32 s4, s8, s4
	s_addc_u32 s5, s9, 0
	global_load_ushort v27, v2, s[4:5]
	ds_read_b32 v2, v0
	v_cmp_ge_i32_e64 s[4:5], v0, v1
	s_waitcnt lgkmcnt(0)
	v_readfirstlane_b32 s12, v2
	s_and_saveexec_b64 s[6:7], s[4:5]
	s_cbranch_execz .LBB4_19
; %bb.10:
	v_cmp_le_u32_e64 s[4:5], v5, v0
                                        ; implicit-def: $vgpr62
	s_and_saveexec_b64 s[10:11], s[4:5]
	s_xor_b64 s[4:5], exec, s[10:11]
	s_cbranch_execz .LBB4_16
; %bb.11:
	v_cndmask_b32_e64 v2, 0, 1, vcc
	v_sub_u32_e32 v2, v56, v2
	v_cmp_ge_u32_e32 vcc, v0, v2
                                        ; implicit-def: $sgpr13
	s_and_saveexec_b64 s[10:11], vcc
	s_xor_b64 s[10:11], exec, s[10:11]
; %bb.12:
	s_mov_b32 s13, 16
                                        ; implicit-def: $vgpr5
; %bb.13:
	s_or_saveexec_b64 s[10:11], s[10:11]
	v_mov_b32_e32 v62, s13
	s_xor_b64 exec, exec, s[10:11]
; %bb.14:
	v_sub_u32_e32 v2, v56, v5
	v_cmp_ge_i32_e32 vcc, v0, v2
	v_cndmask_b32_e64 v2, 0, 1, vcc
	v_lshlrev_b32_e32 v62, 5, v2
; %bb.15:
	s_or_b64 exec, exec, s[10:11]
.LBB4_16:
	s_andn2_saveexec_b64 s[4:5], s[4:5]
; %bb.17:
	v_mov_b32_e32 v62, 8
; %bb.18:
	s_or_b64 exec, exec, s[4:5]
.LBB4_19:
	s_or_b64 exec, exec, s[6:7]
	v_and_b32_e32 v2, 36, v62
	v_cmp_ne_u32_e32 vcc, 0, v2
	v_mov_b32_e32 v2, -1
	s_and_saveexec_b64 s[4:5], vcc
	s_cbranch_execz .LBB4_21
; %bb.20:
	s_trap 2
	ds_read_b32 v2, v0
.LBB4_21:
	s_or_b64 exec, exec, s[4:5]
	v_and_b32_e32 v3, 24, v62
	v_cmp_ne_u32_e64 s[4:5], 0, v3
	s_and_saveexec_b64 s[6:7], s[4:5]
	s_cbranch_execz .LBB4_23
; %bb.22:
	s_trap 2
	s_waitcnt lgkmcnt(0)
	ds_read_b32 v2, v0
.LBB4_23:
	s_or_b64 exec, exec, s[6:7]
	v_lshrrev_b64 v[6:7], 31, v[16:17]
	v_and_b32_e32 v5, 3, v6
	v_pk_mov_b32 v[6:7], 0, 0
	v_accvgpr_write_b32 a9, v7
	s_waitcnt lgkmcnt(0)
	v_ashrrev_i32_e32 v3, 31, v2
	v_accvgpr_write_b32 a8, v6
	v_pk_mov_b32 v[22:23], v[6:7], v[6:7] op_sel:[0,1]
                                        ; implicit-def: $agpr6_agpr7
                                        ; implicit-def: $agpr14
                                        ; implicit-def: $vgpr46_vgpr47
                                        ; implicit-def: $agpr16_agpr17
                                        ; implicit-def: $vgpr42_vgpr43
	s_and_saveexec_b64 s[4:5], vcc
	s_cbranch_execz .LBB4_33
; %bb.24:
	s_trap 2
	ds_read_b64 v[6:7], v0
	v_lshlrev_b64 v[8:9], 3, v[2:3]
	s_movk_i32 s6, 0xa8
                                        ; implicit-def: $agpr6_agpr7
	s_waitcnt lgkmcnt(0)
	v_add_co_u32_e32 v6, vcc, v6, v8
	v_addc_co_u32_e32 v7, vcc, v7, v9, vcc
	flat_load_dwordx2 v[6:7], v[6:7]
	v_and_b32_e32 v8, 0xffff, v5
	s_waitcnt vmcnt(0) lgkmcnt(0)
	v_mad_u64_u32 v[6:7], s[6:7], v8, s6, v[6:7]
	flat_load_dword v8, v[6:7] offset:640
	v_add_co_u32_e32 v22, vcc, 0x1f8, v6
	v_addc_co_u32_e32 v23, vcc, 0, v7, vcc
	s_waitcnt vmcnt(0) lgkmcnt(0)
	v_cmp_eq_u32_e32 vcc, 1, v8
	s_and_saveexec_b64 s[6:7], vcc
	s_cbranch_execz .LBB4_26
; %bb.25:
	flat_load_dwordx2 v[8:9], v[22:23] offset:144
	v_or_b32_e32 v62, 0x2000, v62
	s_waitcnt vmcnt(0) lgkmcnt(0)
	flat_load_dwordx2 v[6:7], v[8:9]
	s_trap 2
	v_accvgpr_write_b32 a6, v8
	v_accvgpr_write_b32 a7, v9
	s_waitcnt vmcnt(0) lgkmcnt(0)
	ds_write_b64 v0, v[6:7]
	flat_load_dwordx2 v[6:7], v[8:9] offset:8
	s_waitcnt vmcnt(0) lgkmcnt(0)
	ds_write_b64 v0, v[6:7]
	flat_load_dwordx2 v[6:7], v[8:9] offset:16
	s_waitcnt vmcnt(0) lgkmcnt(0)
	ds_write_b64 v0, v[6:7]
.LBB4_26:
	s_or_b64 exec, exec, s[6:7]
	flat_load_dwordx2 v[24:25], v[22:23] offset:104
	v_accvgpr_write_b32 a8, v22
	v_and_b32_e32 v6, 32, v62
	v_accvgpr_write_b32 a9, v23
	v_cmp_ne_u32_e32 vcc, 0, v6
                                        ; implicit-def: $vgpr42_vgpr43
	s_and_saveexec_b64 s[6:7], vcc
	s_cbranch_execz .LBB4_28
; %bb.27:
	v_accvgpr_read_b32 v6, a8
	v_accvgpr_read_b32 v7, a9
	flat_load_dwordx2 v[42:43], v[6:7] offset:56
	s_waitcnt vmcnt(0) lgkmcnt(0)
	flat_store_dwordx2 v[42:43], v[24:25]
.LBB4_28:
	s_or_b64 exec, exec, s[6:7]
	v_and_b32_e32 v6, 4, v62
	v_cmp_ne_u32_e32 vcc, 0, v6
	v_pk_mov_b32 v[22:23], 0, 0
                                        ; implicit-def: $agpr14
                                        ; implicit-def: $vgpr46_vgpr47
                                        ; implicit-def: $agpr16_agpr17
	s_and_saveexec_b64 s[6:7], vcc
	s_cbranch_execz .LBB4_32
; %bb.29:
	v_and_b32_e32 v6, 0x800, v62
	v_cmp_eq_u32_e32 vcc, 0, v6
	s_and_saveexec_b64 s[10:11], vcc
	s_cbranch_execz .LBB4_31
; %bb.30:
	s_trap 2
	ds_write_b64 v0, a[8:9]
.LBB4_31:
	s_or_b64 exec, exec, s[10:11]
	v_accvgpr_read_b32 v8, a8
	v_accvgpr_read_b32 v9, a9
	flat_load_dwordx2 v[42:43], v[8:9] offset:48
	s_waitcnt vmcnt(0) lgkmcnt(0)
	v_pk_mov_b32 v[34:35], v[24:25], v[24:25] op_sel:[0,1]
	v_or_b32_e32 v7, 0x100, v62
	flat_load_dwordx2 v[46:47], v[42:43] glc
	flat_load_dword v6, v[8:9] offset:72
	flat_load_dwordx2 v[32:33], v[8:9] offset:96
	flat_load_dwordx2 a[16:17], v[8:9] offset:16
	s_waitcnt vmcnt(0) lgkmcnt(0)
	v_pk_mov_b32 v[22:23], v[32:33], v[32:33] op_sel:[0,1]
	v_ashrrev_i32_e32 v6, 1, v6
	v_cmp_eq_u64_e32 vcc, 0, v[32:33]
	v_accvgpr_write_b32 a14, v6
	v_pk_mov_b32 v[24:25], v[34:35], v[34:35] op_sel:[0,1]
	v_cndmask_b32_e32 v62, v7, v62, vcc
.LBB4_32:
	s_or_b64 exec, exec, s[6:7]
.LBB4_33:
	s_or_b64 exec, exec, s[4:5]
	v_and_b32_e32 v6, 24, v62
	v_cmp_ne_u32_e32 vcc, 0, v6
                                        ; implicit-def: $vgpr58_vgpr59
	s_and_saveexec_b64 s[4:5], vcc
	s_cbranch_execz .LBB4_41
; %bb.34:
	s_trap 2
	ds_read_b64 v[6:7], v0
	v_lshlrev_b64 v[2:3], 3, v[2:3]
	v_and_b32_e32 v5, 0xffff, v5
	s_movk_i32 s6, 0xa8
                                        ; implicit-def: $vgpr58_vgpr59
	s_waitcnt lgkmcnt(0)
	v_add_co_u32_e32 v2, vcc, v6, v2
	v_addc_co_u32_e32 v3, vcc, v7, v3, vcc
	flat_load_dwordx2 v[2:3], v[2:3]
	s_waitcnt vmcnt(0) lgkmcnt(0)
	v_mad_u64_u32 v[2:3], s[6:7], v5, s6, v[2:3]
	flat_load_dwordx4 v[6:9], v[2:3] offset:96
	v_accvgpr_write_b32 a9, v3
	v_accvgpr_write_b32 a8, v2
	v_or_b32_e32 v2, 0x100, v62
	s_waitcnt vmcnt(0) lgkmcnt(0)
	v_cmp_eq_u64_e32 vcc, 0, v[6:7]
	v_cndmask_b32_e32 v62, v2, v62, vcc
	v_pk_mov_b32 v[24:25], v[8:9], v[8:9] op_sel:[0,1]
	v_and_b32_e32 v2, 16, v62
	v_pk_mov_b32 v[22:23], v[6:7], v[6:7] op_sel:[0,1]
	v_cmp_ne_u32_e32 vcc, 0, v2
	s_and_saveexec_b64 s[6:7], vcc
	s_cbranch_execz .LBB4_36
; %bb.35:
	v_accvgpr_read_b32 v2, a8
	v_accvgpr_read_b32 v3, a9
	flat_load_dwordx2 v[58:59], v[2:3] offset:120
	flat_load_dwordx2 v[42:43], v[2:3] offset:48
	;; [unrolled: 1-line block ×3, first 2 shown]
.LBB4_36:
	s_or_b64 exec, exec, s[6:7]
	v_and_b32_e32 v2, 8, v62
	v_cmp_ne_u32_e32 vcc, 0, v2
	s_and_saveexec_b64 s[6:7], vcc
	s_cbranch_execz .LBB4_40
; %bb.37:
	v_and_b32_e32 v2, 0x800, v62
	v_cmp_eq_u32_e32 vcc, 0, v2
	s_and_saveexec_b64 s[10:11], vcc
	s_cbranch_execz .LBB4_39
; %bb.38:
	s_trap 2
	ds_write_b64 v0, a[8:9]
.LBB4_39:
	s_or_b64 exec, exec, s[10:11]
	v_accvgpr_read_b32 v6, a8
	v_accvgpr_read_b32 v7, a9
	s_waitcnt vmcnt(0) lgkmcnt(0)
	flat_load_dwordx2 v[42:43], v[6:7] offset:56
	s_waitcnt vmcnt(0) lgkmcnt(0)
	flat_load_dwordx2 v[46:47], v[42:43] glc
	flat_load_dword v2, v[6:7] offset:72
	flat_load_dwordx2 a[16:17], v[6:7] offset:16
	s_waitcnt vmcnt(0) lgkmcnt(0)
	v_ashrrev_i32_e32 v2, 1, v2
	v_accvgpr_write_b32 a14, v2
.LBB4_40:
	s_or_b64 exec, exec, s[6:7]
.LBB4_41:
	s_or_b64 exec, exec, s[4:5]
	v_cmp_eq_u32_e64 s[4:5], 0, v0
	s_and_saveexec_b64 s[6:7], s[4:5]
	s_cbranch_execz .LBB4_43
; %bb.42:
	s_waitcnt vmcnt(0)
	v_mov_b32_e32 v2, v12
	v_mov_b32_e32 v3, v13
	;; [unrolled: 1-line block ×4, first 2 shown]
	ds_write2_b64 v0, v[2:3], v[6:7] offset1:1
	v_mov_b32_e32 v2, 0
	v_mov_b32_e32 v3, v2
	s_trap 2
	ds_write_b64 v0, v[2:3]
	ds_write_b64 v0, v[20:21]
.LBB4_43:
	s_or_b64 exec, exec, s[6:7]
	s_ashr_i32 s6, s12, 31
	v_mov_b32_e32 v3, 0
	s_lshr_b32 s6, s6, 29
	v_and_b32_e32 v2, 0x1fffff00, v18
	v_accvgpr_write_b32 a21, v3
	s_add_i32 s12, s12, s6
	v_accvgpr_write_b32 a20, v2
	s_ashr_i32 s64, s12, 4
	v_bfe_u32 v2, v16, 1, 30
	v_cmp_ne_u32_e32 vcc, v4, v2
                                        ; implicit-def: $agpr18_agpr19
	s_mov_b64 s[6:7], exec
	s_and_b64 s[10:11], s[6:7], vcc
	v_accvgpr_read_b32 v9, a3
	s_waitcnt vmcnt(0) lgkmcnt(0)
	v_pk_mov_b32 v[16:17], v[22:23], v[22:23] op_sel:[0,1]
	s_xor_b64 s[30:31], s[10:11], s[6:7]
	v_accvgpr_read_b32 v8, a2
	v_pk_mov_b32 v[18:19], v[24:25], v[24:25] op_sel:[0,1]
	s_mov_b64 exec, s[10:11]
	s_cbranch_execz .LBB4_1109
; %bb.44:
	v_cmp_ne_u32_e32 vcc, v14, v2
	v_cmp_ne_u64_e64 s[6:7], 0, v[8:9]
                                        ; implicit-def: $agpr18_agpr19
	s_and_saveexec_b64 s[10:11], vcc
	s_xor_b64 s[34:35], exec, s[10:11]
	s_cbranch_execz .LBB4_582
; %bb.45:
	v_pk_mov_b32 v[2:3], 0, 0
	v_accvgpr_write_b32 a19, v3
	v_accvgpr_write_b32 a18, v2
	s_and_saveexec_b64 s[36:37], s[6:7]
	s_cbranch_execz .LBB4_581
; %bb.46:
	v_accvgpr_read_b32 v2, a14
	v_ashrrev_i32_e32 v29, 31, v2
	v_and_b32_e32 v2, 63, v31
	v_cmp_eq_u32_e64 s[14:15], 0, v2
	v_ashrrev_i32_e32 v2, 31, v0
	v_lshrrev_b32_e32 v2, 26, v2
	v_add_u32_e32 v2, v0, v2
	s_lshr_b32 s10, s64, 27
	v_and_b32_e32 v3, 0xffffffc0, v2
	s_add_i32 s10, s64, s10
	v_sub_u32_e32 v30, v0, v3
	s_ashr_i32 s65, s10, 5
	v_cmp_ge_i32_e64 s[10:11], v0, v56
	v_ashrrev_i32_e32 v32, 6, v2
	v_lshlrev_b32_e32 v0, 4, v30
	v_lshrrev_b32_e32 v28, 6, v56
	v_lshl_add_u32 v34, v32, 11, v0
	v_mov_b32_e32 v0, 0xfffff800
	v_lshl_add_u32 v0, v28, 11, v0
	s_movk_i32 s66, 0x800
	v_cmp_le_i32_e64 s[16:17], v30, v1
	v_cmp_lt_i32_e64 s[18:19], v30, v1
	v_ashrrev_i32_e32 v1, 31, v0
	v_accvgpr_write_b32 a30, v0
	v_add_co_u32_e64 v0, s[20:21], s66, v0
	v_accvgpr_write_b32 a31, v0
	v_addc_co_u32_e64 v0, s[20:21], 0, v1, s[20:21]
	v_accvgpr_write_b32 a32, v0
	v_lshrrev_b32_e64 v0, 6, s33
	v_add_u32_e32 v0, 0xc0, v0
	v_add_u32_e32 v35, 16, v0
	v_lshrrev_b32_e64 v0, 6, s33
	v_add_u32_e32 v0, 0xa0, v0
	v_add_u32_e32 v54, 16, v0
	v_mov_b32_e32 v0, 0xffffff00
	v_lshl_add_u32 v50, v28, 8, v0
	s_movk_i32 s22, 0x100
	v_ashrrev_i32_e32 v49, 31, v50
	v_add_co_u32_e64 v51, s[22:23], s22, v50
	v_lshlrev_b32_e32 v36, 10, v28
	v_addc_co_u32_e64 v52, s[22:23], 0, v49, s[22:23]
	v_lshlrev_b32_e32 v0, 7, v28
	v_add_u32_e32 v38, 0xfffffc00, v36
	s_movk_i32 s67, 0x400
	v_accvgpr_write_b32 a43, v0
	v_add_u32_e32 v0, 0xffffff80, v0
	s_movk_i32 s22, 0x80
	v_cmp_eq_u32_e32 vcc, 64, v56
	v_cmp_ne_u32_e64 s[12:13], 64, v56
	v_cmp_ne_u32_sdwa s[38:39], v27, v56 src0_sel:WORD_0 src1_sel:DWORD
	v_accvgpr_write_b32 a0, v56
	v_accvgpr_write_b32 a29, v1
	v_ashrrev_i32_e32 v37, 31, v38
	v_add_co_u32_e64 v39, s[20:21], s67, v38
	v_ashrrev_i32_e32 v1, 31, v0
	v_accvgpr_write_b32 a44, v0
	v_add_co_u32_e64 v0, s[22:23], s22, v0
	v_pk_mov_b32 v[56:57], 0, 0
	v_addc_co_u32_e64 v48, s[20:21], 0, v37, s[20:21]
	v_accvgpr_write_b32 a22, v58
	v_accvgpr_write_b32 a46, v0
	v_addc_co_u32_e64 v0, s[22:23], 0, v1, s[22:23]
	v_accvgpr_write_b32 a18, v56
	v_accvgpr_read_b32 v2, a20
	v_mov_b32_e32 v60, 0
	v_ashrrev_i32_e32 v33, 31, v34
	s_mov_b64 s[40:41], 0
	v_accvgpr_write_b32 a23, v59
	v_cmp_eq_u64_e64 s[20:21], 0, v[58:59]
	v_accvgpr_write_b32 a45, v1
	v_accvgpr_write_b32 a47, v0
	s_movk_i32 s68, 0x270e
	s_movk_i32 s69, 0x108
	v_mov_b32_e32 v53, 0x100
	v_mov_b32_e32 v55, 1
	s_xor_b64 s[42:43], vcc, -1
	s_mov_b32 s70, 0x7f800000
	s_movk_i32 s71, 0x7fff
	s_mov_b32 s72, 0xffff0000
	v_mov_b32_e32 v40, 0x80
	v_accvgpr_write_b32 a19, v57
	v_accvgpr_read_b32 v3, a21
	s_trap 2
	s_branch .LBB4_49
.LBB4_47:                               ;   in Loop: Header=BB4_49 Depth=1
	s_or_b64 exec, exec, s[22:23]
.LBB4_48:                               ;   in Loop: Header=BB4_49 Depth=1
	s_or_b64 exec, exec, s[24:25]
	v_accvgpr_read_b32 v2, a20
	v_add_co_u32_e32 v56, vcc, v56, v2
	v_addc_co_u32_e32 v57, vcc, 0, v57, vcc
	v_cmp_ge_u64_e32 vcc, v[56:57], v[8:9]
	v_accvgpr_read_b32 v3, a21
	s_or_b64 s[40:41], vcc, s[40:41]
	s_andn2_b64 exec, exec, s[40:41]
	s_cbranch_execz .LBB4_580
.LBB4_49:                               ; =>This Loop Header: Depth=1
                                        ;     Child Loop BB4_58 Depth 2
                                        ;     Child Loop BB4_86 Depth 2
	;; [unrolled: 1-line block ×5, first 2 shown]
                                        ;       Child Loop BB4_330 Depth 3
                                        ;       Child Loop BB4_367 Depth 3
                                        ;     Child Loop BB4_444 Depth 2
                                        ;     Child Loop BB4_479 Depth 2
                                        ;       Child Loop BB4_480 Depth 3
                                        ;       Child Loop BB4_489 Depth 3
                                        ;     Child Loop BB4_510 Depth 2
                                        ;     Child Loop BB4_535 Depth 2
	;; [unrolled: 1-line block ×3, first 2 shown]
	v_sub_co_u32_e32 v0, vcc, v8, v56
	v_subb_co_u32_e32 v1, vcc, v9, v57, vcc
	v_cmp_lt_u64_e32 vcc, v[2:3], v[0:1]
	v_cndmask_b32_e64 v45, v1, 0, vcc
	v_cndmask_b32_e32 v44, v0, v2, vcc
	v_add_u32_e32 v0, 15, v44
	v_cmp_eq_u64_e32 vcc, 0, v[44:45]
	v_and_b32_e32 v0, 0x3ffffff0, v0
	s_or_b64 s[44:45], s[10:11], vcc
	v_max_i32_e32 v23, s65, v0
	s_xor_b64 s[22:23], s[44:45], -1
	v_mov_b32_e32 v1, 0
	s_and_saveexec_b64 s[46:47], s[22:23]
	s_cbranch_execz .LBB4_528
; %bb.50:                               ;   in Loop: Header=BB4_49 Depth=1
	s_and_saveexec_b64 s[22:23], s[4:5]
	s_cbranch_execz .LBB4_52
; %bb.51:                               ;   in Loop: Header=BB4_49 Depth=1
	s_trap 2
	ds_read_b64 v[0:1], v0
	v_accvgpr_read_b32 v2, a4
	v_accvgpr_read_b32 v3, a5
	v_lshlrev_b64 v[2:3], 1, v[2:3]
	v_mov_b32_e32 v61, v60
	s_waitcnt lgkmcnt(0)
	v_add_co_u32_e32 v2, vcc, v0, v2
	v_addc_co_u32_e32 v3, vcc, v1, v3, vcc
	v_lshlrev_b64 v[0:1], 1, v[56:57]
	v_add_co_u32_e32 v0, vcc, v2, v0
	v_addc_co_u32_e32 v1, vcc, v3, v1, vcc
	ds_write_b64 v0, v[0:1]
	ds_write_b64 v0, v[60:61]
.LBB4_52:                               ;   in Loop: Header=BB4_49 Depth=1
	s_or_b64 exec, exec, s[22:23]
	v_and_b32_e32 v0, 12, v62
	v_cmp_ne_u32_e32 vcc, 0, v0
	s_mov_b64 s[24:25], -1
	s_and_saveexec_b64 s[22:23], vcc
	s_cbranch_execz .LBB4_64
; %bb.53:                               ;   in Loop: Header=BB4_49 Depth=1
	v_and_b32_e32 v0, 8, v62
	s_waitcnt lgkmcnt(0)
	v_add_co_u32_e32 v4, vcc, v46, v0
	v_addc_co_u32_e32 v5, vcc, 0, v47, vcc
	v_add_co_u32_e32 v2, vcc, 1, v18
	v_addc_co_u32_e32 v3, vcc, 0, v19, vcc
	v_cmp_lt_u64_e32 vcc, v[4:5], v[2:3]
	v_mov_b32_e32 v1, 1
	s_and_saveexec_b64 s[24:25], vcc
	s_cbranch_execz .LBB4_63
; %bb.54:                               ;   in Loop: Header=BB4_49 Depth=1
	s_mov_b64 s[26:27], 0
	v_mov_b32_e32 v1, 0
                                        ; implicit-def: $sgpr48_sgpr49
	s_branch .LBB4_58
.LBB4_55:                               ;   in Loop: Header=BB4_58 Depth=2
	s_or_b64 exec, exec, s[56:57]
	v_mov_b32_e32 v4, 0
	s_orn2_b64 s[54:55], s[54:55], exec
.LBB4_56:                               ;   in Loop: Header=BB4_58 Depth=2
	s_or_b64 exec, exec, s[52:53]
	s_andn2_b64 vcc, s[48:49], exec
	s_and_b64 s[48:49], s[54:55], exec
	s_or_b64 s[48:49], vcc, s[48:49]
	v_mov_b32_e32 v1, v4
.LBB4_57:                               ;   in Loop: Header=BB4_58 Depth=2
	s_or_b64 exec, exec, s[50:51]
	s_waitcnt vmcnt(0) lgkmcnt(0)
	v_add_co_u32_e32 v4, vcc, v46, v0
	v_addc_co_u32_e32 v5, vcc, 0, v47, vcc
	v_cmp_ge_u64_e32 vcc, v[4:5], v[2:3]
	s_xor_b64 s[50:51], s[48:49], -1
	s_or_b64 vcc, s[50:51], vcc
	s_and_b64 vcc, exec, vcc
	s_or_b64 s[26:27], vcc, s[26:27]
	s_andn2_b64 exec, exec, s[26:27]
	s_cbranch_execz .LBB4_62
.LBB4_58:                               ;   Parent Loop BB4_49 Depth=1
                                        ; =>  This Inner Loop Header: Depth=2
	s_sleep 1
	flat_load_dwordx2 v[46:47], v[42:43] glc
	v_and_b32_e32 v4, 64, v62
	v_cmp_eq_u32_e32 vcc, 0, v4
	s_andn2_b64 s[48:49], s[48:49], exec
	s_and_saveexec_b64 s[50:51], vcc
	s_cbranch_execz .LBB4_57
; %bb.59:                               ;   in Loop: Header=BB4_58 Depth=2
	v_add_u32_e32 v4, 1, v1
	v_cmp_lt_i32_e32 vcc, s68, v1
	s_mov_b64 s[54:55], -1
	s_and_saveexec_b64 s[52:53], vcc
	s_cbranch_execz .LBB4_56
; %bb.60:                               ;   in Loop: Header=BB4_58 Depth=2
	s_trap 2
	ds_read_b64 v[4:5], v0
	s_waitcnt vmcnt(0) lgkmcnt(0)
	flat_load_dword v1, v[4:5] glc
	s_waitcnt vmcnt(0) lgkmcnt(0)
	buffer_invl2
	buffer_wbinvl1_vol
	v_cmp_ne_u32_e32 vcc, 0, v1
	s_and_saveexec_b64 s[56:57], vcc
	s_cbranch_execz .LBB4_55
; %bb.61:                               ;   in Loop: Header=BB4_58 Depth=2
	v_or_b32_e32 v62, 64, v62
	s_xor_b64 s[54:55], exec, -1
	ds_write_b32 v0, v1
	s_trap 2
	s_branch .LBB4_55
.LBB4_62:                               ;   in Loop: Header=BB4_49 Depth=1
	s_or_b64 exec, exec, s[26:27]
	v_and_b32_e32 v1, 12, v62
.LBB4_63:                               ;   in Loop: Header=BB4_49 Depth=1
	s_or_b64 exec, exec, s[24:25]
	v_cmp_eq_u32_e32 vcc, 0, v1
	s_orn2_b64 s[24:25], vcc, exec
	;;#ASMSTART
	s_wakeup
	;;#ASMEND
.LBB4_64:                               ;   in Loop: Header=BB4_49 Depth=1
	s_or_b64 exec, exec, s[22:23]
	s_xor_b64 s[22:23], s[24:25], -1
	v_min_u32_e32 v23, v23, v44
	s_and_saveexec_b64 s[24:25], s[22:23]
	s_cbranch_execz .LBB4_78
; %bb.65:                               ;   in Loop: Header=BB4_49 Depth=1
	v_and_b32_e32 v0, 0x108, v62
	v_cmp_ne_u32_e32 vcc, s69, v0
	v_and_b32_e32 v0, 7, v18
	s_and_saveexec_b64 s[22:23], vcc
	s_xor_b64 s[22:23], exec, s[22:23]
                                        ; implicit-def: $vgpr2_vgpr3
; %bb.66:                               ;   in Loop: Header=BB4_49 Depth=1
	v_mov_b32_e32 v3, v60
; %bb.67:                               ;   in Loop: Header=BB4_49 Depth=1
	s_andn2_saveexec_b64 s[22:23], s[22:23]
	s_cbranch_execz .LBB4_69
; %bb.68:                               ;   in Loop: Header=BB4_49 Depth=1
	v_mov_b32_e32 v3, v60
	s_waitcnt lgkmcnt(0)
	v_mad_u64_u32 v[4:5], s[26:27], v0, 24, v[16:17]
	v_lshlrev_b32_e32 v6, 1, v23
	v_mov_b32_e32 v7, v60
	flat_store_dwordx2 v[4:5], v[6:7] offset:8
.LBB4_69:                               ;   in Loop: Header=BB4_49 Depth=1
	s_or_b64 exec, exec, s[22:23]
	v_and_b32_e32 v1, 0x100, v62
	v_cmp_ne_u32_e32 vcc, 0, v1
	s_mov_b64 s[22:23], -1
                                        ; implicit-def: $vgpr10_vgpr11
	s_and_saveexec_b64 s[26:27], vcc
	s_cbranch_execz .LBB4_73
; %bb.70:                               ;   in Loop: Header=BB4_49 Depth=1
	v_mad_u64_u32 v[12:13], s[22:23], v0, 24, v[16:17]
	v_mov_b32_e32 v2, v13
	s_waitcnt lgkmcnt(0)
	v_mad_u64_u32 v[4:5], s[22:23], v3, 24, v[2:3]
	v_mov_b32_e32 v13, v4
	flat_load_dword v1, v[12:13]
                                        ; implicit-def: $vgpr10_vgpr11
	s_waitcnt vmcnt(0) lgkmcnt(0)
	v_cmp_ne_u32_e32 vcc, 1, v1
	v_cmp_eq_u32_e64 s[22:23], 1, v1
	s_and_saveexec_b64 s[48:49], s[22:23]
	s_cbranch_execz .LBB4_72
; %bb.71:                               ;   in Loop: Header=BB4_49 Depth=1
	flat_load_dword v4, v[12:13] offset:4 glc
	s_waitcnt vmcnt(0) lgkmcnt(0)
	v_ashrrev_i32_e32 v5, 31, v4
	v_lshrrev_b64 v[10:11], 1, v[4:5]
.LBB4_72:                               ;   in Loop: Header=BB4_49 Depth=1
	s_or_b64 exec, exec, s[48:49]
	s_orn2_b64 s[22:23], vcc, exec
.LBB4_73:                               ;   in Loop: Header=BB4_49 Depth=1
	s_or_b64 exec, exec, s[26:27]
	s_and_saveexec_b64 s[26:27], s[22:23]
	s_cbranch_execz .LBB4_75
; %bb.74:                               ;   in Loop: Header=BB4_49 Depth=1
	s_waitcnt lgkmcnt(0)
	v_accvgpr_read_b32 v4, a14
	v_mul_lo_u32 v1, v3, v4
	v_mul_lo_u32 v2, v0, v29
	v_mad_u64_u32 v[10:11], s[22:23], v0, v4, 0
	v_add3_u32 v11, v11, v2, v1
.LBB4_75:                               ;   in Loop: Header=BB4_49 Depth=1
	s_or_b64 exec, exec, s[26:27]
	v_lshlrev_b64 v[0:1], 1, v[10:11]
	v_accvgpr_read_b32 v2, a16
	v_accvgpr_read_b32 v3, a17
	v_add_co_u32_e32 v0, vcc, v2, v0
	v_addc_co_u32_e32 v1, vcc, v3, v1, vcc
	s_trap 2
	ds_write_b64 v0, v[0:1]
	v_and_b32_e32 v0, 0x2000, v62
	v_cmp_ne_u32_e32 vcc, 0, v0
	s_and_saveexec_b64 s[22:23], vcc
	s_cbranch_execz .LBB4_77
; %bb.76:                               ;   in Loop: Header=BB4_49 Depth=1
	ds_read_b64 v[0:1], v0 offset:584
	s_waitcnt lgkmcnt(0)
	v_add_co_u32_e32 v0, vcc, 1, v0
	v_addc_co_u32_e32 v1, vcc, 0, v1, vcc
	ds_write_b64 v0, v[0:1] offset:584
.LBB4_77:                               ;   in Loop: Header=BB4_49 Depth=1
	s_or_b64 exec, exec, s[22:23]
	v_add_co_u32_e32 v18, vcc, 1, v18
	v_addc_co_u32_e32 v19, vcc, 0, v19, vcc
.LBB4_78:                               ;   in Loop: Header=BB4_49 Depth=1
	s_or_b64 exec, exec, s[24:25]
	s_and_saveexec_b64 s[22:23], s[12:13]
	s_cbranch_execz .LBB4_97
; %bb.79:                               ;   in Loop: Header=BB4_49 Depth=1
	s_and_saveexec_b64 s[24:25], s[38:39]
	s_xor_b64 s[24:25], exec, s[24:25]
	s_cbranch_execz .LBB4_94
; %bb.80:                               ;   in Loop: Header=BB4_49 Depth=1
	s_and_saveexec_b64 s[26:27], s[14:15]
	s_cbranch_execz .LBB4_93
; %bb.81:                               ;   in Loop: Header=BB4_49 Depth=1
	s_mov_b64 s[50:51], exec
	v_mbcnt_lo_u32_b32 v0, s50, 0
	v_mbcnt_hi_u32_b32 v0, s51, v0
	v_cmp_eq_u32_e32 vcc, 0, v0
	s_waitcnt vmcnt(0) lgkmcnt(0)
	buffer_wbinvl1_vol
	s_and_saveexec_b64 s[48:49], vcc
	s_cbranch_execz .LBB4_83
; %bb.82:                               ;   in Loop: Header=BB4_49 Depth=1
	s_bcnt1_i32_b64 vcc_lo, s[50:51]
	v_mov_b32_e32 v0, vcc_lo
	v_mov_b32_e32 v1, v60
	ds_add_u64 v0, v[0:1]
	s_trap 2
.LBB4_83:                               ;   in Loop: Header=BB4_49 Depth=1
	s_or_b64 exec, exec, s[48:49]
	s_trap 2
	ds_read_b64 v[0:1], v0
	v_accvgpr_read_b32 v2, a18
	v_accvgpr_read_b32 v3, a19
	v_add_co_u32_e32 v2, vcc, v2, v28
	v_addc_co_u32_e32 v3, vcc, 0, v3, vcc
	v_accvgpr_write_b32 a19, v3
	v_accvgpr_write_b32 a18, v2
	s_waitcnt lgkmcnt(0)
	v_cmp_lt_u64_e32 vcc, v[0:1], v[2:3]
	s_and_saveexec_b64 s[48:49], vcc
	s_cbranch_execz .LBB4_92
; %bb.84:                               ;   in Loop: Header=BB4_49 Depth=1
	s_mov_b32 s60, 0
	s_mov_b64 s[50:51], 0
                                        ; implicit-def: $sgpr52_sgpr53
                                        ; implicit-def: $sgpr54_sgpr55
	s_branch .LBB4_86
.LBB4_85:                               ;   in Loop: Header=BB4_86 Depth=2
	s_or_b64 exec, exec, s[58:59]
	s_and_b64 vcc, exec, vcc
	s_or_b64 s[50:51], vcc, s[50:51]
	s_andn2_b64 vcc, s[52:53], exec
	s_and_b64 s[52:53], s[54:55], exec
	s_or_b64 s[52:53], vcc, s[52:53]
	s_andn2_b64 exec, exec, s[50:51]
	s_cbranch_execz .LBB4_90
.LBB4_86:                               ;   Parent Loop BB4_49 Depth=1
                                        ; =>  This Inner Loop Header: Depth=2
	s_add_i32 s60, s60, 1
	s_cmpk_lg_i32 s60, 0x2710
	s_cselect_b64 s[56:57], -1, 0
	s_and_b64 vcc, exec, s[56:57]
                                        ; implicit-def: $sgpr58_sgpr59
	s_cbranch_vccnz .LBB4_88
; %bb.87:                               ;   in Loop: Header=BB4_86 Depth=2
	s_trap 2
	ds_read_b64 v[0:1], v0
	s_andn2_b64 s[56:57], s[56:57], exec
	s_mov_b32 s60, 0
	s_mov_b64 s[58:59], -1
	s_waitcnt lgkmcnt(0)
	flat_load_dword v0, v[0:1] glc
	s_waitcnt vmcnt(0) lgkmcnt(0)
	buffer_invl2
	buffer_wbinvl1_vol
	v_cmp_eq_u32_e32 vcc, 0, v0
	s_and_b64 vcc, vcc, exec
	s_or_b64 s[56:57], s[56:57], vcc
.LBB4_88:                               ;   in Loop: Header=BB4_86 Depth=2
	s_andn2_b64 s[54:55], s[54:55], exec
	s_and_b64 s[58:59], s[58:59], exec
	s_mov_b64 vcc, -1
	s_or_b64 s[54:55], s[54:55], s[58:59]
	s_and_saveexec_b64 s[58:59], s[56:57]
	s_cbranch_execz .LBB4_85
; %bb.89:                               ;   in Loop: Header=BB4_86 Depth=2
	s_sleep 1
	s_trap 2
	ds_read_b64 v[0:1], v0
	v_accvgpr_read_b32 v2, a18
	v_accvgpr_read_b32 v3, a19
	s_andn2_b64 s[54:55], s[54:55], exec
	s_waitcnt lgkmcnt(0)
	v_cmp_ge_u64_e32 vcc, v[0:1], v[2:3]
	s_orn2_b64 vcc, vcc, exec
	s_branch .LBB4_85
.LBB4_90:                               ;   in Loop: Header=BB4_49 Depth=1
	s_or_b64 exec, exec, s[50:51]
	s_and_saveexec_b64 vcc, s[52:53]
	s_xor_b64 vcc, exec, vcc
	s_cbranch_execz .LBB4_92
; %bb.91:                               ;   in Loop: Header=BB4_49 Depth=1
	ds_write_b32 v0, v55
	s_trap 2
.LBB4_92:                               ;   in Loop: Header=BB4_49 Depth=1
	s_or_b64 exec, exec, s[48:49]
	;;#ASMSTART
	s_wakeup
	;;#ASMEND
.LBB4_93:                               ;   in Loop: Header=BB4_49 Depth=1
	s_or_b64 exec, exec, s[26:27]
.LBB4_94:                               ;   in Loop: Header=BB4_49 Depth=1
	s_andn2_saveexec_b64 s[24:25], s[24:25]
	s_cbranch_execz .LBB4_96
; %bb.95:                               ;   in Loop: Header=BB4_49 Depth=1
	s_waitcnt vmcnt(0) lgkmcnt(0)
	buffer_wbinvl1_vol
	s_barrier
.LBB4_96:                               ;   in Loop: Header=BB4_49 Depth=1
	s_or_b64 exec, exec, s[24:25]
.LBB4_97:                               ;   in Loop: Header=BB4_49 Depth=1
	s_or_b64 exec, exec, s[22:23]
	s_trap 2
	ds_read_b32 v0, v0
	v_and_b32_e32 v1, 0x4000, v62
	v_cmp_ne_u32_e32 vcc, 0, v1
	s_and_b64 s[24:25], s[42:43], vcc
	s_and_saveexec_b64 s[22:23], s[24:25]
	s_cbranch_execz .LBB4_116
; %bb.98:                               ;   in Loop: Header=BB4_49 Depth=1
	s_and_saveexec_b64 s[24:25], s[38:39]
	s_xor_b64 s[24:25], exec, s[24:25]
	s_cbranch_execz .LBB4_113
; %bb.99:                               ;   in Loop: Header=BB4_49 Depth=1
	s_and_saveexec_b64 s[26:27], s[14:15]
	s_cbranch_execz .LBB4_112
; %bb.100:                              ;   in Loop: Header=BB4_49 Depth=1
	s_mov_b64 s[50:51], exec
	v_mbcnt_lo_u32_b32 v1, s50, 0
	v_mbcnt_hi_u32_b32 v1, s51, v1
	v_cmp_eq_u32_e32 vcc, 0, v1
	s_waitcnt vmcnt(0) lgkmcnt(0)
	buffer_wbinvl1_vol
	s_and_saveexec_b64 s[48:49], vcc
	s_cbranch_execz .LBB4_102
; %bb.101:                              ;   in Loop: Header=BB4_49 Depth=1
	s_bcnt1_i32_b64 vcc_lo, s[50:51]
	v_mov_b32_e32 v2, vcc_lo
	v_mov_b32_e32 v3, v60
	ds_add_u64 v0, v[2:3]
	s_trap 2
.LBB4_102:                              ;   in Loop: Header=BB4_49 Depth=1
	s_or_b64 exec, exec, s[48:49]
	s_trap 2
	ds_read_b64 v[2:3], v0
	v_accvgpr_read_b32 v4, a18
	v_accvgpr_read_b32 v5, a19
	v_add_co_u32_e32 v4, vcc, v4, v28
	v_addc_co_u32_e32 v5, vcc, 0, v5, vcc
	v_accvgpr_write_b32 a19, v5
	v_accvgpr_write_b32 a18, v4
	s_waitcnt lgkmcnt(0)
	v_cmp_lt_u64_e32 vcc, v[2:3], v[4:5]
	s_and_saveexec_b64 s[48:49], vcc
	s_cbranch_execz .LBB4_111
; %bb.103:                              ;   in Loop: Header=BB4_49 Depth=1
	s_mov_b32 s60, 0
	s_mov_b64 s[50:51], 0
                                        ; implicit-def: $sgpr52_sgpr53
                                        ; implicit-def: $sgpr54_sgpr55
	s_branch .LBB4_105
.LBB4_104:                              ;   in Loop: Header=BB4_105 Depth=2
	s_or_b64 exec, exec, s[58:59]
	s_and_b64 vcc, exec, vcc
	s_or_b64 s[50:51], vcc, s[50:51]
	s_andn2_b64 vcc, s[52:53], exec
	s_and_b64 s[52:53], s[54:55], exec
	s_or_b64 s[52:53], vcc, s[52:53]
	s_andn2_b64 exec, exec, s[50:51]
	s_cbranch_execz .LBB4_109
.LBB4_105:                              ;   Parent Loop BB4_49 Depth=1
                                        ; =>  This Inner Loop Header: Depth=2
	s_add_i32 s60, s60, 1
	s_cmpk_lg_i32 s60, 0x2710
	s_cselect_b64 s[56:57], -1, 0
	s_and_b64 vcc, exec, s[56:57]
                                        ; implicit-def: $sgpr58_sgpr59
	s_cbranch_vccnz .LBB4_107
; %bb.106:                              ;   in Loop: Header=BB4_105 Depth=2
	s_trap 2
	ds_read_b64 v[2:3], v0
	s_andn2_b64 s[56:57], s[56:57], exec
	s_mov_b32 s60, 0
	s_mov_b64 s[58:59], -1
	s_waitcnt lgkmcnt(0)
	flat_load_dword v1, v[2:3] glc
	s_waitcnt vmcnt(0) lgkmcnt(0)
	buffer_invl2
	buffer_wbinvl1_vol
	v_cmp_eq_u32_e32 vcc, 0, v1
	s_and_b64 vcc, vcc, exec
	s_or_b64 s[56:57], s[56:57], vcc
.LBB4_107:                              ;   in Loop: Header=BB4_105 Depth=2
	s_andn2_b64 s[54:55], s[54:55], exec
	s_and_b64 s[58:59], s[58:59], exec
	s_mov_b64 vcc, -1
	s_or_b64 s[54:55], s[54:55], s[58:59]
	s_and_saveexec_b64 s[58:59], s[56:57]
	s_cbranch_execz .LBB4_104
; %bb.108:                              ;   in Loop: Header=BB4_105 Depth=2
	s_sleep 1
	s_trap 2
	ds_read_b64 v[2:3], v0
	v_accvgpr_read_b32 v4, a18
	v_accvgpr_read_b32 v5, a19
	s_andn2_b64 s[54:55], s[54:55], exec
	s_waitcnt lgkmcnt(0)
	v_cmp_ge_u64_e32 vcc, v[2:3], v[4:5]
	s_orn2_b64 vcc, vcc, exec
	s_branch .LBB4_104
.LBB4_109:                              ;   in Loop: Header=BB4_49 Depth=1
	s_or_b64 exec, exec, s[50:51]
	s_and_saveexec_b64 vcc, s[52:53]
	s_xor_b64 vcc, exec, vcc
	s_cbranch_execz .LBB4_111
; %bb.110:                              ;   in Loop: Header=BB4_49 Depth=1
	ds_write_b32 v0, v55
	s_trap 2
.LBB4_111:                              ;   in Loop: Header=BB4_49 Depth=1
	s_or_b64 exec, exec, s[48:49]
	;;#ASMSTART
	s_wakeup
	;;#ASMEND
.LBB4_112:                              ;   in Loop: Header=BB4_49 Depth=1
	s_or_b64 exec, exec, s[26:27]
.LBB4_113:                              ;   in Loop: Header=BB4_49 Depth=1
	s_andn2_saveexec_b64 s[24:25], s[24:25]
	s_cbranch_execz .LBB4_115
; %bb.114:                              ;   in Loop: Header=BB4_49 Depth=1
	s_waitcnt vmcnt(0) lgkmcnt(0)
	buffer_wbinvl1_vol
	s_barrier
.LBB4_115:                              ;   in Loop: Header=BB4_49 Depth=1
	s_or_b64 exec, exec, s[24:25]
.LBB4_116:                              ;   in Loop: Header=BB4_49 Depth=1
	s_or_b64 exec, exec, s[22:23]
	s_trap 2
	s_waitcnt lgkmcnt(0)
	ds_read_b64 v[2:3], v0
	s_waitcnt lgkmcnt(0)
	v_readfirstlane_b32 s22, v2
	v_readfirstlane_b32 s23, v3
	s_cmp_eq_u64 s[22:23], 0
	s_cselect_b64 s[22:23], -1, 0
	s_or_b64 s[24:25], s[22:23], s[22:23]
	s_mov_b64 s[22:23], 0
	s_and_b64 vcc, exec, s[24:25]
	s_cbranch_vccnz .LBB4_502
; %bb.117:                              ;   in Loop: Header=BB4_49 Depth=1
	s_mov_b64 s[22:23], -1
	s_and_saveexec_b64 s[24:25], s[16:17]
	s_cbranch_execz .LBB4_119
; %bb.118:                              ;   in Loop: Header=BB4_49 Depth=1
	ds_read_b32 v1, v0 offset:720
	s_waitcnt lgkmcnt(0)
	v_and_b32_e32 v1, 15, v1
	v_cmp_eq_u32_e32 vcc, 0, v1
	s_orn2_b64 s[22:23], vcc, exec
.LBB4_119:                              ;   in Loop: Header=BB4_49 Depth=1
	s_or_b64 exec, exec, s[24:25]
	s_and_saveexec_b64 s[24:25], s[18:19]
	s_cbranch_execz .LBB4_121
; %bb.120:                              ;   in Loop: Header=BB4_49 Depth=1
	ds_read_b32 v1, v0 offset:784
	s_waitcnt lgkmcnt(0)
	v_and_b32_e32 v1, 15, v1
	v_cmp_eq_u32_e32 vcc, 0, v1
	s_and_b64 s[26:27], s[22:23], vcc
	s_andn2_b64 s[22:23], s[22:23], exec
	s_and_b64 s[26:27], s[26:27], exec
	s_or_b64 s[22:23], s[22:23], s[26:27]
.LBB4_121:                              ;   in Loop: Header=BB4_49 Depth=1
	s_or_b64 exec, exec, s[24:25]
	s_xor_b64 s[22:23], s[22:23], -1
	v_cmp_eq_u32_e32 vcc, 0, v0
	v_cndmask_b32_e64 v0, 0, 1, s[22:23]
	;;#ASMSTART
	;;#ASMEND
	s_trap 2
	ds_read_b64 v[4:5], v0
	v_accvgpr_write_b32 a10, v16
	v_cndmask_b32_e32 v41, 0, v23, vcc
	v_accvgpr_write_b32 a11, v17
	v_accvgpr_write_b32 a12, v18
	;; [unrolled: 1-line block ×3, first 2 shown]
	v_mov_b32_e32 v19, 0
	v_lshlrev_b32_e32 v45, 1, v41
	s_mov_b64 s[22:23], -1
	v_cmp_ne_u32_e32 vcc, 0, v0
	s_cbranch_vccz .LBB4_123
; %bb.122:                              ;   in Loop: Header=BB4_49 Depth=1
	v_mov_b32_e32 v20, v30
	v_mov_b32_e32 v0, v32
	s_and_saveexec_b64 s[26:27], s[22:23]
	s_cbranch_execnz .LBB4_441
	s_branch .LBB4_501
.LBB4_123:                              ;   in Loop: Header=BB4_49 Depth=1
	v_lshrrev_b32_e32 v0, 10, v41
	v_accvgpr_write_b32 a54, v0
	v_sub_u32_e32 v61, v0, v32
	s_waitcnt lgkmcnt(0)
	v_add_co_u32_e32 v0, vcc, v4, v34
	v_accvgpr_write_b32 a53, v5
	v_addc_co_u32_e32 v1, vcc, v5, v33, vcc
	v_accvgpr_write_b32 a49, v23
	v_accvgpr_write_b32 a52, v4
	v_cmp_lt_i32_e32 vcc, 0, v61
	s_mov_b64 s[24:25], 0
                                        ; implicit-def: $vgpr22_vgpr23
                                        ; implicit-def: $vgpr18_vgpr19
                                        ; implicit-def: $vgpr14_vgpr15
                                        ; implicit-def: $vgpr10_vgpr11
	s_and_saveexec_b64 s[22:23], vcc
	s_cbranch_execz .LBB4_259
; %bb.124:                              ;   in Loop: Header=BB4_49 Depth=1
	s_trap 2
	ds_read_b128 v[2:5], v0
	v_accvgpr_write_b32 a48, v44
	v_accvgpr_write_b32 a51, v45
	;; [unrolled: 1-line block ×4, first 2 shown]
	s_waitcnt lgkmcnt(0)
	v_add_co_u32_e32 v2, vcc, v2, v34
	v_addc_co_u32_e32 v3, vcc, v3, v33, vcc
	v_add_co_u32_e32 v44, vcc, v4, v34
	v_accvgpr_write_b32 a41, v51
	v_accvgpr_write_b32 a39, v49
	;; [unrolled: 1-line block ×13, first 2 shown]
	v_mov_b32_e32 v9, v31
	v_accvgpr_write_b32 a28, v34
	v_accvgpr_write_b32 a27, v33
	v_addc_co_u32_e32 v45, vcc, v5, v33, vcc
	s_mov_b64 s[48:49], 0
                                        ; implicit-def: $sgpr26_sgpr27
                                        ; implicit-def: $vgpr12_vgpr13
                                        ; implicit-def: $vgpr16_vgpr17
                                        ; implicit-def: $vgpr20_vgpr21
                                        ; implicit-def: $vgpr24_vgpr25
	s_branch .LBB4_126
.LBB4_125:                              ;   in Loop: Header=BB4_126 Depth=2
	s_or_b64 exec, exec, s[50:51]
	v_lshrrev_b32_e32 v2, 16, v55
	v_and_or_b32 v49, v49, s72, v2
	v_lshrrev_b32_e32 v2, 16, v58
	v_and_or_b32 v48, v48, s72, v2
	;; [unrolled: 2-line block ×5, first 2 shown]
	v_lshrrev_b32_e32 v4, 16, v5
	v_lshrrev_b32_e32 v2, 16, v37
	v_and_or_b32 v4, v28, s72, v4
	v_lshrrev_b32_e32 v5, 16, v6
	v_and_or_b32 v2, v32, s72, v2
	v_and_or_b32 v5, v7, s72, v5
	global_store_dwordx4 v[0:1], v[48:51], off glc slc
	global_store_dwordx4 v[0:1], v[2:5], off offset:1024 glc slc
	v_accvgpr_read_b32 v7, a31
	v_accvgpr_read_b32 v4, a30
	v_add_co_u32_e32 v2, vcc, v52, v4
	v_accvgpr_read_b32 v5, a29
	v_addc_co_u32_e32 v3, vcc, v53, v5, vcc
	v_add_co_u32_e32 v4, vcc, v44, v4
	v_mov_b32_e32 v8, 0x800
	v_addc_co_u32_e32 v5, vcc, v45, v5, vcc
	v_accvgpr_read_b32 v6, a32
	v_cndmask_b32_e64 v7, v8, v7, s[48:49]
	v_accvgpr_read_b32 v28, a24
	v_cndmask_b32_e64 v6, 0, v6, s[48:49]
	v_add_co_u32_e32 v0, vcc, v0, v7
	v_cndmask_b32_e64 v44, v44, v4, s[48:49]
	v_cndmask_b32_e64 v4, 0, v28, s[48:49]
	v_addc_co_u32_e32 v1, vcc, v1, v6, vcc
	v_sub_u32_e32 v61, v61, v4
	v_cmp_gt_i32_e32 vcc, 1, v61
	s_or_b64 s[24:25], vcc, s[24:25]
	s_andn2_b64 s[26:27], s[26:27], exec
	s_and_b64 vcc, s[48:49], exec
	v_cndmask_b32_e64 v3, v53, v3, s[48:49]
	v_cndmask_b32_e64 v2, v52, v2, s[48:49]
	;; [unrolled: 1-line block ×3, first 2 shown]
	s_or_b64 s[26:27], s[26:27], vcc
	s_andn2_b64 exec, exec, s[24:25]
	s_cbranch_execz .LBB4_258
.LBB4_126:                              ;   Parent Loop BB4_49 Depth=1
                                        ; =>  This Inner Loop Header: Depth=2
	v_accvgpr_write_b32 a24, v28
	global_load_dwordx4 v[48:51], v[2:3], off glc slc
	global_load_dwordx4 v[32:35], v[2:3], off offset:1024 glc slc
	global_load_dwordx4 v[36:39], v[44:45], off glc slc
	global_load_dwordx4 v[26:29], v[44:45], off offset:1024 glc slc
	s_and_saveexec_b64 s[50:51], s[48:49]
	s_cbranch_execz .LBB4_192
; %bb.127:                              ;   in Loop: Header=BB4_126 Depth=2
	v_lshlrev_b32_e32 v4, 16, v22
	v_lshlrev_b32_e32 v6, 16, v18
	v_pk_add_f32 v[52:53], v[4:5], v[6:7] op_sel_hi:[0,1]
	v_and_b32_e32 v4, 0x7f800000, v52
	v_cmp_ne_u32_e32 vcc, s70, v4
                                        ; implicit-def: $vgpr58
	s_and_saveexec_b64 s[48:49], vcc
	s_xor_b64 vcc, exec, s[48:49]
; %bb.128:                              ;   in Loop: Header=BB4_126 Depth=2
	v_bfe_u32 v4, v52, 16, 1
	v_add3_u32 v58, v52, v4, s71
                                        ; implicit-def: $vgpr52_vgpr53
; %bb.129:                              ;   in Loop: Header=BB4_126 Depth=2
	s_andn2_saveexec_b64 s[48:49], vcc
; %bb.130:                              ;   in Loop: Header=BB4_126 Depth=2
	v_or_b32_e32 v4, 0x10000, v52
	v_cmp_eq_u32_sdwa vcc, v52, v60 src0_sel:WORD_0 src1_sel:DWORD
	v_cndmask_b32_e32 v58, v4, v52, vcc
; %bb.131:                              ;   in Loop: Header=BB4_126 Depth=2
	s_or_b64 exec, exec, s[48:49]
	v_mov_b32_e32 v4, v18
	v_mov_b32_e32 v5, v22
	v_and_b32_e32 v6, 0xffff0000, v5
	v_and_b32_e32 v4, 0xffff0000, v4
	v_pk_add_f32 v[52:53], v[6:7], v[4:5] op_sel_hi:[0,1]
	v_and_b32_e32 v4, 0x7f800000, v52
	v_cmp_ne_u32_e32 vcc, s70, v4
                                        ; implicit-def: $vgpr59
	s_and_saveexec_b64 s[48:49], vcc
	s_xor_b64 vcc, exec, s[48:49]
; %bb.132:                              ;   in Loop: Header=BB4_126 Depth=2
	v_bfe_u32 v4, v52, 16, 1
	v_add3_u32 v59, v52, v4, s71
                                        ; implicit-def: $vgpr52_vgpr53
; %bb.133:                              ;   in Loop: Header=BB4_126 Depth=2
	s_andn2_saveexec_b64 s[48:49], vcc
; %bb.134:                              ;   in Loop: Header=BB4_126 Depth=2
	v_or_b32_e32 v4, 0x10000, v52
	v_cmp_eq_u32_sdwa vcc, v52, v60 src0_sel:WORD_0 src1_sel:DWORD
	v_cndmask_b32_e32 v59, v4, v52, vcc
; %bb.135:                              ;   in Loop: Header=BB4_126 Depth=2
	s_or_b64 exec, exec, s[48:49]
	v_lshlrev_b32_e32 v4, 16, v23
	v_lshlrev_b32_e32 v6, 16, v19
	v_pk_add_f32 v[52:53], v[4:5], v[6:7] op_sel_hi:[0,1]
	v_and_b32_e32 v4, 0x7f800000, v52
	v_cmp_ne_u32_e32 vcc, s70, v4
                                        ; implicit-def: $vgpr55
	s_and_saveexec_b64 s[48:49], vcc
	s_xor_b64 vcc, exec, s[48:49]
; %bb.136:                              ;   in Loop: Header=BB4_126 Depth=2
	v_bfe_u32 v4, v52, 16, 1
	v_add3_u32 v55, v52, v4, s71
                                        ; implicit-def: $vgpr52_vgpr53
; %bb.137:                              ;   in Loop: Header=BB4_126 Depth=2
	s_andn2_saveexec_b64 s[48:49], vcc
; %bb.138:                              ;   in Loop: Header=BB4_126 Depth=2
	v_or_b32_e32 v4, 0x10000, v52
	v_cmp_eq_u32_sdwa vcc, v52, v60 src0_sel:WORD_0 src1_sel:DWORD
	v_cndmask_b32_e32 v55, v4, v52, vcc
; %bb.139:                              ;   in Loop: Header=BB4_126 Depth=2
	s_or_b64 exec, exec, s[48:49]
	v_mov_b32_e32 v4, v19
	v_and_b32_e32 v6, 0xffff0000, v23
	v_and_b32_e32 v4, 0xffff0000, v4
	v_pk_add_f32 v[22:23], v[6:7], v[4:5] op_sel_hi:[0,1]
	v_and_b32_e32 v4, 0x7f800000, v22
	v_cmp_ne_u32_e32 vcc, s70, v4
                                        ; implicit-def: $vgpr52
	s_and_saveexec_b64 s[48:49], vcc
	s_xor_b64 vcc, exec, s[48:49]
; %bb.140:                              ;   in Loop: Header=BB4_126 Depth=2
	v_bfe_u32 v4, v22, 16, 1
	v_add3_u32 v52, v22, v4, s71
                                        ; implicit-def: $vgpr22_vgpr23
; %bb.141:                              ;   in Loop: Header=BB4_126 Depth=2
	s_andn2_saveexec_b64 s[48:49], vcc
; %bb.142:                              ;   in Loop: Header=BB4_126 Depth=2
	v_or_b32_e32 v4, 0x10000, v22
	v_cmp_eq_u32_sdwa vcc, v22, v60 src0_sel:WORD_0 src1_sel:DWORD
	v_cndmask_b32_e32 v52, v4, v22, vcc
; %bb.143:                              ;   in Loop: Header=BB4_126 Depth=2
	s_or_b64 exec, exec, s[48:49]
	v_lshlrev_b32_e32 v4, 16, v24
	v_lshlrev_b32_e32 v6, 16, v20
	v_pk_add_f32 v[22:23], v[4:5], v[6:7] op_sel_hi:[0,1]
	v_and_b32_e32 v4, 0x7f800000, v22
	v_cmp_ne_u32_e32 vcc, s70, v4
                                        ; implicit-def: $vgpr53
	s_and_saveexec_b64 s[48:49], vcc
	s_xor_b64 vcc, exec, s[48:49]
; %bb.144:                              ;   in Loop: Header=BB4_126 Depth=2
	v_bfe_u32 v4, v22, 16, 1
	v_add3_u32 v53, v22, v4, s71
                                        ; implicit-def: $vgpr22_vgpr23
; %bb.145:                              ;   in Loop: Header=BB4_126 Depth=2
	s_andn2_saveexec_b64 s[48:49], vcc
; %bb.146:                              ;   in Loop: Header=BB4_126 Depth=2
	v_or_b32_e32 v4, 0x10000, v22
	v_cmp_eq_u32_sdwa vcc, v22, v60 src0_sel:WORD_0 src1_sel:DWORD
	v_cndmask_b32_e32 v53, v4, v22, vcc
; %bb.147:                              ;   in Loop: Header=BB4_126 Depth=2
	s_or_b64 exec, exec, s[48:49]
	v_mov_b32_e32 v4, v20
	v_mov_b32_e32 v5, v24
	v_and_b32_e32 v6, 0xffff0000, v5
	v_and_b32_e32 v4, 0xffff0000, v4
	v_pk_add_f32 v[22:23], v[6:7], v[4:5] op_sel_hi:[0,1]
	v_and_b32_e32 v4, 0x7f800000, v22
	v_cmp_ne_u32_e32 vcc, s70, v4
                                        ; implicit-def: $vgpr24
	s_and_saveexec_b64 s[48:49], vcc
	s_xor_b64 vcc, exec, s[48:49]
; %bb.148:                              ;   in Loop: Header=BB4_126 Depth=2
	v_bfe_u32 v4, v22, 16, 1
	v_add3_u32 v24, v22, v4, s71
                                        ; implicit-def: $vgpr22_vgpr23
; %bb.149:                              ;   in Loop: Header=BB4_126 Depth=2
	s_andn2_saveexec_b64 s[48:49], vcc
; %bb.150:                              ;   in Loop: Header=BB4_126 Depth=2
	v_or_b32_e32 v4, 0x10000, v22
	v_cmp_eq_u32_sdwa vcc, v22, v60 src0_sel:WORD_0 src1_sel:DWORD
	v_cndmask_b32_e32 v24, v4, v22, vcc
; %bb.151:                              ;   in Loop: Header=BB4_126 Depth=2
	s_or_b64 exec, exec, s[48:49]
	v_lshlrev_b32_e32 v4, 16, v25
	v_lshlrev_b32_e32 v6, 16, v21
	v_pk_add_f32 v[22:23], v[4:5], v[6:7] op_sel_hi:[0,1]
	v_and_b32_e32 v4, 0x7f800000, v22
	v_cmp_ne_u32_e32 vcc, s70, v4
                                        ; implicit-def: $vgpr30
	s_and_saveexec_b64 s[48:49], vcc
	s_xor_b64 vcc, exec, s[48:49]
; %bb.152:                              ;   in Loop: Header=BB4_126 Depth=2
	v_bfe_u32 v4, v22, 16, 1
	v_add3_u32 v30, v22, v4, s71
                                        ; implicit-def: $vgpr22_vgpr23
; %bb.153:                              ;   in Loop: Header=BB4_126 Depth=2
	s_andn2_saveexec_b64 s[48:49], vcc
; %bb.154:                              ;   in Loop: Header=BB4_126 Depth=2
	v_or_b32_e32 v4, 0x10000, v22
	v_cmp_eq_u32_sdwa vcc, v22, v60 src0_sel:WORD_0 src1_sel:DWORD
	v_cndmask_b32_e32 v30, v4, v22, vcc
; %bb.155:                              ;   in Loop: Header=BB4_126 Depth=2
	s_or_b64 exec, exec, s[48:49]
	v_mov_b32_e32 v4, v21
	v_and_b32_e32 v6, 0xffff0000, v25
	v_and_b32_e32 v4, 0xffff0000, v4
	v_pk_add_f32 v[22:23], v[6:7], v[4:5] op_sel_hi:[0,1]
	v_and_b32_e32 v4, 0x7f800000, v22
	v_cmp_ne_u32_e32 vcc, s70, v4
                                        ; implicit-def: $vgpr25
	s_and_saveexec_b64 s[48:49], vcc
	s_xor_b64 vcc, exec, s[48:49]
; %bb.156:                              ;   in Loop: Header=BB4_126 Depth=2
	v_bfe_u32 v4, v22, 16, 1
	v_add3_u32 v25, v22, v4, s71
                                        ; implicit-def: $vgpr22_vgpr23
; %bb.157:                              ;   in Loop: Header=BB4_126 Depth=2
	s_andn2_saveexec_b64 s[48:49], vcc
; %bb.158:                              ;   in Loop: Header=BB4_126 Depth=2
	v_or_b32_e32 v4, 0x10000, v22
	v_cmp_eq_u32_sdwa vcc, v22, v60 src0_sel:WORD_0 src1_sel:DWORD
	v_cndmask_b32_e32 v25, v4, v22, vcc
; %bb.159:                              ;   in Loop: Header=BB4_126 Depth=2
	s_or_b64 exec, exec, s[48:49]
	v_lshlrev_b32_e32 v4, 16, v14
	v_lshlrev_b32_e32 v6, 16, v10
	v_pk_add_f32 v[22:23], v[4:5], v[6:7] op_sel_hi:[0,1]
	v_and_b32_e32 v4, 0x7f800000, v22
	v_cmp_ne_u32_e32 vcc, s70, v4
                                        ; implicit-def: $vgpr40
	s_and_saveexec_b64 s[48:49], vcc
	s_xor_b64 vcc, exec, s[48:49]
; %bb.160:                              ;   in Loop: Header=BB4_126 Depth=2
	v_bfe_u32 v4, v22, 16, 1
	v_add3_u32 v40, v22, v4, s71
                                        ; implicit-def: $vgpr22_vgpr23
; %bb.161:                              ;   in Loop: Header=BB4_126 Depth=2
	s_andn2_saveexec_b64 s[48:49], vcc
; %bb.162:                              ;   in Loop: Header=BB4_126 Depth=2
	v_or_b32_e32 v4, 0x10000, v22
	v_cmp_eq_u32_sdwa vcc, v22, v60 src0_sel:WORD_0 src1_sel:DWORD
	v_cndmask_b32_e32 v40, v4, v22, vcc
; %bb.163:                              ;   in Loop: Header=BB4_126 Depth=2
	s_or_b64 exec, exec, s[48:49]
	v_mov_b32_e32 v4, v10
	v_mov_b32_e32 v5, v14
	v_and_b32_e32 v6, 0xffff0000, v5
	v_and_b32_e32 v4, 0xffff0000, v4
	v_pk_add_f32 v[22:23], v[6:7], v[4:5] op_sel_hi:[0,1]
	v_and_b32_e32 v4, 0x7f800000, v22
	v_cmp_ne_u32_e32 vcc, s70, v4
                                        ; implicit-def: $vgpr41
	s_and_saveexec_b64 s[48:49], vcc
	s_xor_b64 vcc, exec, s[48:49]
; %bb.164:                              ;   in Loop: Header=BB4_126 Depth=2
	v_bfe_u32 v4, v22, 16, 1
	v_add3_u32 v41, v22, v4, s71
                                        ; implicit-def: $vgpr22_vgpr23
; %bb.165:                              ;   in Loop: Header=BB4_126 Depth=2
	s_andn2_saveexec_b64 s[48:49], vcc
; %bb.166:                              ;   in Loop: Header=BB4_126 Depth=2
	v_or_b32_e32 v4, 0x10000, v22
	v_cmp_eq_u32_sdwa vcc, v22, v60 src0_sel:WORD_0 src1_sel:DWORD
	v_cndmask_b32_e32 v41, v4, v22, vcc
; %bb.167:                              ;   in Loop: Header=BB4_126 Depth=2
	s_or_b64 exec, exec, s[48:49]
	v_lshlrev_b32_e32 v4, 16, v15
	v_lshlrev_b32_e32 v6, 16, v11
	v_pk_add_f32 v[22:23], v[4:5], v[6:7] op_sel_hi:[0,1]
	v_and_b32_e32 v4, 0x7f800000, v22
	v_cmp_ne_u32_e32 vcc, s70, v4
                                        ; implicit-def: $vgpr31
	s_and_saveexec_b64 s[48:49], vcc
	s_xor_b64 vcc, exec, s[48:49]
; %bb.168:                              ;   in Loop: Header=BB4_126 Depth=2
	v_bfe_u32 v4, v22, 16, 1
	v_add3_u32 v31, v22, v4, s71
                                        ; implicit-def: $vgpr22_vgpr23
; %bb.169:                              ;   in Loop: Header=BB4_126 Depth=2
	s_andn2_saveexec_b64 s[48:49], vcc
; %bb.170:                              ;   in Loop: Header=BB4_126 Depth=2
	v_or_b32_e32 v4, 0x10000, v22
	v_cmp_eq_u32_sdwa vcc, v22, v60 src0_sel:WORD_0 src1_sel:DWORD
	v_cndmask_b32_e32 v31, v4, v22, vcc
; %bb.171:                              ;   in Loop: Header=BB4_126 Depth=2
	s_or_b64 exec, exec, s[48:49]
	v_mov_b32_e32 v4, v11
	v_and_b32_e32 v6, 0xffff0000, v15
	v_and_b32_e32 v4, 0xffff0000, v4
	v_pk_add_f32 v[14:15], v[6:7], v[4:5] op_sel_hi:[0,1]
	v_and_b32_e32 v4, 0x7f800000, v14
	v_cmp_ne_u32_e32 vcc, s70, v4
                                        ; implicit-def: $vgpr4
	s_and_saveexec_b64 s[48:49], vcc
	s_xor_b64 vcc, exec, s[48:49]
; %bb.172:                              ;   in Loop: Header=BB4_126 Depth=2
	v_bfe_u32 v4, v14, 16, 1
	v_add3_u32 v4, v14, v4, s71
                                        ; implicit-def: $vgpr14_vgpr15
; %bb.173:                              ;   in Loop: Header=BB4_126 Depth=2
	s_andn2_saveexec_b64 s[48:49], vcc
; %bb.174:                              ;   in Loop: Header=BB4_126 Depth=2
	v_or_b32_e32 v4, 0x10000, v14
	v_cmp_eq_u32_sdwa vcc, v14, v60 src0_sel:WORD_0 src1_sel:DWORD
	v_cndmask_b32_e32 v4, v4, v14, vcc
; %bb.175:                              ;   in Loop: Header=BB4_126 Depth=2
	s_or_b64 exec, exec, s[48:49]
	v_lshlrev_b32_e32 v6, 16, v16
	v_lshlrev_b32_e32 v8, 16, v12
	v_pk_add_f32 v[14:15], v[6:7], v[8:9] op_sel_hi:[0,1]
	v_and_b32_e32 v5, 0x7f800000, v14
	v_cmp_ne_u32_e32 vcc, s70, v5
                                        ; implicit-def: $vgpr5
	s_and_saveexec_b64 s[48:49], vcc
	s_xor_b64 vcc, exec, s[48:49]
; %bb.176:                              ;   in Loop: Header=BB4_126 Depth=2
	v_bfe_u32 v5, v14, 16, 1
	v_add3_u32 v5, v14, v5, s71
                                        ; implicit-def: $vgpr14_vgpr15
; %bb.177:                              ;   in Loop: Header=BB4_126 Depth=2
	s_andn2_saveexec_b64 s[48:49], vcc
; %bb.178:                              ;   in Loop: Header=BB4_126 Depth=2
	v_or_b32_e32 v5, 0x10000, v14
	v_cmp_eq_u32_sdwa vcc, v14, v60 src0_sel:WORD_0 src1_sel:DWORD
	v_cndmask_b32_e32 v5, v5, v14, vcc
; %bb.179:                              ;   in Loop: Header=BB4_126 Depth=2
	s_or_b64 exec, exec, s[48:49]
	v_mov_b32_e32 v6, v12
	v_mov_b32_e32 v7, v16
	v_and_b32_e32 v8, 0xffff0000, v7
	v_and_b32_e32 v6, 0xffff0000, v6
	v_pk_add_f32 v[14:15], v[8:9], v[6:7] op_sel_hi:[0,1]
	v_and_b32_e32 v6, 0x7f800000, v14
	v_cmp_ne_u32_e32 vcc, s70, v6
                                        ; implicit-def: $vgpr16
	s_and_saveexec_b64 s[48:49], vcc
	s_xor_b64 vcc, exec, s[48:49]
; %bb.180:                              ;   in Loop: Header=BB4_126 Depth=2
	v_bfe_u32 v6, v14, 16, 1
	v_add3_u32 v16, v14, v6, s71
                                        ; implicit-def: $vgpr14_vgpr15
; %bb.181:                              ;   in Loop: Header=BB4_126 Depth=2
	s_andn2_saveexec_b64 s[48:49], vcc
; %bb.182:                              ;   in Loop: Header=BB4_126 Depth=2
	v_or_b32_e32 v6, 0x10000, v14
	v_cmp_eq_u32_sdwa vcc, v14, v60 src0_sel:WORD_0 src1_sel:DWORD
	v_cndmask_b32_e32 v16, v6, v14, vcc
; %bb.183:                              ;   in Loop: Header=BB4_126 Depth=2
	s_or_b64 exec, exec, s[48:49]
	v_lshlrev_b32_e32 v6, 16, v17
	v_lshlrev_b32_e32 v8, 16, v13
	v_pk_add_f32 v[14:15], v[6:7], v[8:9] op_sel_hi:[0,1]
	v_and_b32_e32 v6, 0x7f800000, v14
	v_cmp_ne_u32_e32 vcc, s70, v6
                                        ; implicit-def: $vgpr6
	s_and_saveexec_b64 s[48:49], vcc
	s_xor_b64 vcc, exec, s[48:49]
; %bb.184:                              ;   in Loop: Header=BB4_126 Depth=2
	v_bfe_u32 v6, v14, 16, 1
	v_add3_u32 v6, v14, v6, s71
                                        ; implicit-def: $vgpr14_vgpr15
; %bb.185:                              ;   in Loop: Header=BB4_126 Depth=2
	s_andn2_saveexec_b64 s[48:49], vcc
; %bb.186:                              ;   in Loop: Header=BB4_126 Depth=2
	v_or_b32_e32 v6, 0x10000, v14
	v_cmp_eq_u32_sdwa vcc, v14, v60 src0_sel:WORD_0 src1_sel:DWORD
	v_cndmask_b32_e32 v6, v6, v14, vcc
; %bb.187:                              ;   in Loop: Header=BB4_126 Depth=2
	s_or_b64 exec, exec, s[48:49]
	v_mov_b32_e32 v8, v13
	v_and_b32_e32 v14, 0xffff0000, v17
	v_and_b32_e32 v8, 0xffff0000, v8
	v_pk_add_f32 v[14:15], v[14:15], v[8:9] op_sel_hi:[0,1]
	v_and_b32_e32 v7, 0x7f800000, v14
	v_cmp_ne_u32_e32 vcc, s70, v7
                                        ; implicit-def: $vgpr7
	s_and_saveexec_b64 s[48:49], vcc
	s_xor_b64 vcc, exec, s[48:49]
; %bb.188:                              ;   in Loop: Header=BB4_126 Depth=2
	v_bfe_u32 v7, v14, 16, 1
	v_add3_u32 v7, v14, v7, s71
                                        ; implicit-def: $vgpr14_vgpr15
; %bb.189:                              ;   in Loop: Header=BB4_126 Depth=2
	s_andn2_saveexec_b64 s[48:49], vcc
; %bb.190:                              ;   in Loop: Header=BB4_126 Depth=2
	v_or_b32_e32 v7, 0x10000, v14
	v_cmp_eq_u32_sdwa vcc, v14, v60 src0_sel:WORD_0 src1_sel:DWORD
	v_cndmask_b32_e32 v7, v7, v14, vcc
; %bb.191:                              ;   in Loop: Header=BB4_126 Depth=2
	s_or_b64 exec, exec, s[48:49]
	v_lshrrev_b32_e32 v8, 16, v55
	v_and_or_b32 v23, v52, s72, v8
	v_lshrrev_b32_e32 v8, 16, v58
	v_and_or_b32 v22, v59, s72, v8
	;; [unrolled: 2-line block ×8, first 2 shown]
	v_accvgpr_read_b32 v4, a31
	global_store_dwordx4 v[0:1], v[22:25], off glc slc
	global_store_dwordx4 v[0:1], v[14:17], off offset:1024 glc slc
	v_add_co_u32_e32 v0, vcc, v0, v4
	v_accvgpr_read_b32 v4, a32
	v_addc_co_u32_e32 v1, vcc, v1, v4, vcc
.LBB4_192:                              ;   in Loop: Header=BB4_126 Depth=2
	s_or_b64 exec, exec, s[50:51]
	v_accvgpr_read_b32 v4, a31
	v_add_co_u32_e32 v52, vcc, v2, v4
	v_accvgpr_read_b32 v2, a32
	v_addc_co_u32_e32 v53, vcc, v3, v2, vcc
	v_add_co_u32_e32 v44, vcc, v44, v4
	v_addc_co_u32_e32 v45, vcc, v45, v2, vcc
	v_accvgpr_read_b32 v2, a24
	v_sub_u32_e32 v61, v61, v2
	v_cmp_lt_i32_e64 s[48:49], 0, v61
	s_and_saveexec_b64 s[50:51], s[48:49]
	s_cbranch_execz .LBB4_194
; %bb.193:                              ;   in Loop: Header=BB4_126 Depth=2
	global_load_dwordx4 v[22:25], v[52:53], off glc slc
	global_load_dwordx4 v[14:17], v[52:53], off offset:1024 glc slc
	global_load_dwordx4 v[18:21], v[44:45], off glc slc
	global_load_dwordx4 v[10:13], v[44:45], off offset:1024 glc slc
	v_add_co_u32_e32 v52, vcc, s66, v52
	v_addc_co_u32_e32 v53, vcc, 0, v53, vcc
	v_add_co_u32_e32 v44, vcc, 0x800, v44
	v_addc_co_u32_e32 v45, vcc, 0, v45, vcc
.LBB4_194:                              ;   in Loop: Header=BB4_126 Depth=2
	s_or_b64 exec, exec, s[50:51]
	s_waitcnt vmcnt(0)
	v_lshlrev_b32_e32 v2, 16, v36
	v_lshlrev_b32_e32 v4, 16, v48
	v_pk_add_f32 v[2:3], v[2:3], v[4:5] op_sel_hi:[0,1]
	v_and_b32_e32 v3, 0x7f800000, v2
	v_cmp_ne_u32_e32 vcc, s70, v3
                                        ; implicit-def: $vgpr58
	s_and_saveexec_b64 s[50:51], vcc
	s_xor_b64 vcc, exec, s[50:51]
; %bb.195:                              ;   in Loop: Header=BB4_126 Depth=2
	v_bfe_u32 v3, v2, 16, 1
	v_add3_u32 v58, v2, v3, s71
                                        ; implicit-def: $vgpr2_vgpr3
; %bb.196:                              ;   in Loop: Header=BB4_126 Depth=2
	s_andn2_saveexec_b64 s[50:51], vcc
; %bb.197:                              ;   in Loop: Header=BB4_126 Depth=2
	v_or_b32_e32 v3, 0x10000, v2
	v_cmp_eq_u32_sdwa vcc, v2, v60 src0_sel:WORD_0 src1_sel:DWORD
	v_cndmask_b32_e32 v58, v3, v2, vcc
; %bb.198:                              ;   in Loop: Header=BB4_126 Depth=2
	s_or_b64 exec, exec, s[50:51]
	v_and_b32_e32 v2, 0xffff0000, v36
	v_and_b32_e32 v4, 0xffff0000, v48
	v_pk_add_f32 v[2:3], v[2:3], v[4:5] op_sel_hi:[0,1]
	v_and_b32_e32 v3, 0x7f800000, v2
	v_cmp_ne_u32_e32 vcc, s70, v3
                                        ; implicit-def: $vgpr48
	s_and_saveexec_b64 s[50:51], vcc
	s_xor_b64 vcc, exec, s[50:51]
; %bb.199:                              ;   in Loop: Header=BB4_126 Depth=2
	v_bfe_u32 v3, v2, 16, 1
	v_add3_u32 v48, v2, v3, s71
                                        ; implicit-def: $vgpr2_vgpr3
; %bb.200:                              ;   in Loop: Header=BB4_126 Depth=2
	s_andn2_saveexec_b64 s[50:51], vcc
; %bb.201:                              ;   in Loop: Header=BB4_126 Depth=2
	v_or_b32_e32 v3, 0x10000, v2
	v_cmp_eq_u32_sdwa vcc, v2, v60 src0_sel:WORD_0 src1_sel:DWORD
	v_cndmask_b32_e32 v48, v3, v2, vcc
; %bb.202:                              ;   in Loop: Header=BB4_126 Depth=2
	s_or_b64 exec, exec, s[50:51]
	v_mov_b32_e32 v3, v37
	v_lshlrev_b32_e32 v2, 16, v3
	v_lshlrev_b32_e32 v4, 16, v49
	v_pk_add_f32 v[36:37], v[2:3], v[4:5] op_sel_hi:[0,1]
	v_and_b32_e32 v2, 0x7f800000, v36
	v_cmp_ne_u32_e32 vcc, s70, v2
                                        ; implicit-def: $vgpr55
	s_and_saveexec_b64 s[50:51], vcc
	s_xor_b64 vcc, exec, s[50:51]
; %bb.203:                              ;   in Loop: Header=BB4_126 Depth=2
	v_bfe_u32 v2, v36, 16, 1
	v_add3_u32 v55, v36, v2, s71
                                        ; implicit-def: $vgpr36_vgpr37
; %bb.204:                              ;   in Loop: Header=BB4_126 Depth=2
	s_andn2_saveexec_b64 s[50:51], vcc
; %bb.205:                              ;   in Loop: Header=BB4_126 Depth=2
	v_or_b32_e32 v2, 0x10000, v36
	v_cmp_eq_u32_sdwa vcc, v36, v60 src0_sel:WORD_0 src1_sel:DWORD
	v_cndmask_b32_e32 v55, v2, v36, vcc
; %bb.206:                              ;   in Loop: Header=BB4_126 Depth=2
	s_or_b64 exec, exec, s[50:51]
	v_and_b32_e32 v2, 0xffff0000, v3
	v_and_b32_e32 v4, 0xffff0000, v49
	v_pk_add_f32 v[2:3], v[2:3], v[4:5] op_sel_hi:[0,1]
	v_and_b32_e32 v3, 0x7f800000, v2
	v_cmp_ne_u32_e32 vcc, s70, v3
                                        ; implicit-def: $vgpr49
	s_and_saveexec_b64 s[50:51], vcc
	s_xor_b64 vcc, exec, s[50:51]
; %bb.207:                              ;   in Loop: Header=BB4_126 Depth=2
	v_bfe_u32 v3, v2, 16, 1
	v_add3_u32 v49, v2, v3, s71
                                        ; implicit-def: $vgpr2_vgpr3
; %bb.208:                              ;   in Loop: Header=BB4_126 Depth=2
	s_andn2_saveexec_b64 s[50:51], vcc
; %bb.209:                              ;   in Loop: Header=BB4_126 Depth=2
	v_or_b32_e32 v3, 0x10000, v2
	v_cmp_eq_u32_sdwa vcc, v2, v60 src0_sel:WORD_0 src1_sel:DWORD
	v_cndmask_b32_e32 v49, v3, v2, vcc
; %bb.210:                              ;   in Loop: Header=BB4_126 Depth=2
	s_or_b64 exec, exec, s[50:51]
	v_lshlrev_b32_e32 v2, 16, v38
	v_lshlrev_b32_e32 v4, 16, v50
	v_pk_add_f32 v[2:3], v[2:3], v[4:5] op_sel_hi:[0,1]
	v_and_b32_e32 v3, 0x7f800000, v2
	v_cmp_ne_u32_e32 vcc, s70, v3
                                        ; implicit-def: $vgpr59
	s_and_saveexec_b64 s[50:51], vcc
	s_xor_b64 vcc, exec, s[50:51]
; %bb.211:                              ;   in Loop: Header=BB4_126 Depth=2
	v_bfe_u32 v3, v2, 16, 1
	v_add3_u32 v59, v2, v3, s71
                                        ; implicit-def: $vgpr2_vgpr3
; %bb.212:                              ;   in Loop: Header=BB4_126 Depth=2
	s_andn2_saveexec_b64 s[50:51], vcc
; %bb.213:                              ;   in Loop: Header=BB4_126 Depth=2
	v_or_b32_e32 v3, 0x10000, v2
	v_cmp_eq_u32_sdwa vcc, v2, v60 src0_sel:WORD_0 src1_sel:DWORD
	v_cndmask_b32_e32 v59, v3, v2, vcc
; %bb.214:                              ;   in Loop: Header=BB4_126 Depth=2
	s_or_b64 exec, exec, s[50:51]
	v_and_b32_e32 v2, 0xffff0000, v38
	v_and_b32_e32 v4, 0xffff0000, v50
	v_pk_add_f32 v[2:3], v[2:3], v[4:5] op_sel_hi:[0,1]
	v_and_b32_e32 v3, 0x7f800000, v2
	v_cmp_ne_u32_e32 vcc, s70, v3
                                        ; implicit-def: $vgpr38
	s_and_saveexec_b64 s[50:51], vcc
	s_xor_b64 vcc, exec, s[50:51]
; %bb.215:                              ;   in Loop: Header=BB4_126 Depth=2
	v_bfe_u32 v3, v2, 16, 1
	v_add3_u32 v38, v2, v3, s71
                                        ; implicit-def: $vgpr2_vgpr3
; %bb.216:                              ;   in Loop: Header=BB4_126 Depth=2
	s_andn2_saveexec_b64 s[50:51], vcc
; %bb.217:                              ;   in Loop: Header=BB4_126 Depth=2
	v_or_b32_e32 v3, 0x10000, v2
	v_cmp_eq_u32_sdwa vcc, v2, v60 src0_sel:WORD_0 src1_sel:DWORD
	v_cndmask_b32_e32 v38, v3, v2, vcc
; %bb.218:                              ;   in Loop: Header=BB4_126 Depth=2
	s_or_b64 exec, exec, s[50:51]
	v_mov_b32_e32 v3, v51
	v_lshlrev_b32_e32 v2, 16, v39
	v_lshlrev_b32_e32 v4, 16, v3
	v_pk_add_f32 v[36:37], v[2:3], v[4:5] op_sel_hi:[0,1]
	v_and_b32_e32 v2, 0x7f800000, v36
	v_cmp_ne_u32_e32 vcc, s70, v2
                                        ; implicit-def: $vgpr30
	s_and_saveexec_b64 s[50:51], vcc
	s_xor_b64 vcc, exec, s[50:51]
; %bb.219:                              ;   in Loop: Header=BB4_126 Depth=2
	v_bfe_u32 v2, v36, 16, 1
	v_add3_u32 v30, v36, v2, s71
                                        ; implicit-def: $vgpr36_vgpr37
; %bb.220:                              ;   in Loop: Header=BB4_126 Depth=2
	s_andn2_saveexec_b64 s[50:51], vcc
; %bb.221:                              ;   in Loop: Header=BB4_126 Depth=2
	v_or_b32_e32 v2, 0x10000, v36
	v_cmp_eq_u32_sdwa vcc, v36, v60 src0_sel:WORD_0 src1_sel:DWORD
	v_cndmask_b32_e32 v30, v2, v36, vcc
; %bb.222:                              ;   in Loop: Header=BB4_126 Depth=2
	s_or_b64 exec, exec, s[50:51]
	v_and_b32_e32 v2, 0xffff0000, v39
	v_and_b32_e32 v4, 0xffff0000, v3
	v_pk_add_f32 v[2:3], v[2:3], v[4:5] op_sel_hi:[0,1]
	v_and_b32_e32 v3, 0x7f800000, v2
	v_cmp_ne_u32_e32 vcc, s70, v3
                                        ; implicit-def: $vgpr36
	s_and_saveexec_b64 s[50:51], vcc
	s_xor_b64 vcc, exec, s[50:51]
; %bb.223:                              ;   in Loop: Header=BB4_126 Depth=2
	v_bfe_u32 v3, v2, 16, 1
	v_add3_u32 v36, v2, v3, s71
                                        ; implicit-def: $vgpr2_vgpr3
; %bb.224:                              ;   in Loop: Header=BB4_126 Depth=2
	s_andn2_saveexec_b64 s[50:51], vcc
; %bb.225:                              ;   in Loop: Header=BB4_126 Depth=2
	v_or_b32_e32 v3, 0x10000, v2
	v_cmp_eq_u32_sdwa vcc, v2, v60 src0_sel:WORD_0 src1_sel:DWORD
	v_cndmask_b32_e32 v36, v3, v2, vcc
; %bb.226:                              ;   in Loop: Header=BB4_126 Depth=2
	s_or_b64 exec, exec, s[50:51]
	v_lshlrev_b32_e32 v2, 16, v26
	v_lshlrev_b32_e32 v4, 16, v32
	v_pk_add_f32 v[2:3], v[2:3], v[4:5] op_sel_hi:[0,1]
	v_and_b32_e32 v3, 0x7f800000, v2
	v_cmp_ne_u32_e32 vcc, s70, v3
                                        ; implicit-def: $vgpr37
	s_and_saveexec_b64 s[50:51], vcc
	s_xor_b64 vcc, exec, s[50:51]
; %bb.227:                              ;   in Loop: Header=BB4_126 Depth=2
	v_bfe_u32 v3, v2, 16, 1
	v_add3_u32 v37, v2, v3, s71
                                        ; implicit-def: $vgpr2_vgpr3
; %bb.228:                              ;   in Loop: Header=BB4_126 Depth=2
	s_andn2_saveexec_b64 s[50:51], vcc
; %bb.229:                              ;   in Loop: Header=BB4_126 Depth=2
	v_or_b32_e32 v3, 0x10000, v2
	v_cmp_eq_u32_sdwa vcc, v2, v60 src0_sel:WORD_0 src1_sel:DWORD
	v_cndmask_b32_e32 v37, v3, v2, vcc
; %bb.230:                              ;   in Loop: Header=BB4_126 Depth=2
	s_or_b64 exec, exec, s[50:51]
	v_and_b32_e32 v2, 0xffff0000, v26
	v_and_b32_e32 v4, 0xffff0000, v32
	v_pk_add_f32 v[2:3], v[2:3], v[4:5] op_sel_hi:[0,1]
	v_and_b32_e32 v3, 0x7f800000, v2
	v_cmp_ne_u32_e32 vcc, s70, v3
                                        ; implicit-def: $vgpr32
	s_and_saveexec_b64 s[50:51], vcc
	s_xor_b64 vcc, exec, s[50:51]
; %bb.231:                              ;   in Loop: Header=BB4_126 Depth=2
	v_bfe_u32 v3, v2, 16, 1
	v_add3_u32 v32, v2, v3, s71
                                        ; implicit-def: $vgpr2_vgpr3
; %bb.232:                              ;   in Loop: Header=BB4_126 Depth=2
	s_andn2_saveexec_b64 s[50:51], vcc
; %bb.233:                              ;   in Loop: Header=BB4_126 Depth=2
	v_or_b32_e32 v3, 0x10000, v2
	v_cmp_eq_u32_sdwa vcc, v2, v60 src0_sel:WORD_0 src1_sel:DWORD
	v_cndmask_b32_e32 v32, v3, v2, vcc
; %bb.234:                              ;   in Loop: Header=BB4_126 Depth=2
	s_or_b64 exec, exec, s[50:51]
	v_mov_b32_e32 v3, v27
	v_lshlrev_b32_e32 v2, 16, v3
	v_lshlrev_b32_e32 v4, 16, v33
	v_pk_add_f32 v[26:27], v[2:3], v[4:5] op_sel_hi:[0,1]
	v_and_b32_e32 v2, 0x7f800000, v26
	v_cmp_ne_u32_e32 vcc, s70, v2
                                        ; implicit-def: $vgpr31
	s_and_saveexec_b64 s[50:51], vcc
	s_xor_b64 vcc, exec, s[50:51]
; %bb.235:                              ;   in Loop: Header=BB4_126 Depth=2
	v_bfe_u32 v2, v26, 16, 1
	v_add3_u32 v31, v26, v2, s71
                                        ; implicit-def: $vgpr26_vgpr27
; %bb.236:                              ;   in Loop: Header=BB4_126 Depth=2
	s_andn2_saveexec_b64 s[50:51], vcc
; %bb.237:                              ;   in Loop: Header=BB4_126 Depth=2
	v_or_b32_e32 v2, 0x10000, v26
	v_cmp_eq_u32_sdwa vcc, v26, v60 src0_sel:WORD_0 src1_sel:DWORD
	v_cndmask_b32_e32 v31, v2, v26, vcc
; %bb.238:                              ;   in Loop: Header=BB4_126 Depth=2
	s_or_b64 exec, exec, s[50:51]
	v_and_b32_e32 v2, 0xffff0000, v3
	v_and_b32_e32 v4, 0xffff0000, v33
	v_pk_add_f32 v[2:3], v[2:3], v[4:5] op_sel_hi:[0,1]
	v_and_b32_e32 v3, 0x7f800000, v2
	v_cmp_ne_u32_e32 vcc, s70, v3
                                        ; implicit-def: $vgpr4
	s_and_saveexec_b64 s[50:51], vcc
	s_xor_b64 vcc, exec, s[50:51]
; %bb.239:                              ;   in Loop: Header=BB4_126 Depth=2
	v_bfe_u32 v3, v2, 16, 1
	v_add3_u32 v4, v2, v3, s71
                                        ; implicit-def: $vgpr2_vgpr3
; %bb.240:                              ;   in Loop: Header=BB4_126 Depth=2
	s_andn2_saveexec_b64 s[50:51], vcc
; %bb.241:                              ;   in Loop: Header=BB4_126 Depth=2
	v_or_b32_e32 v3, 0x10000, v2
	v_cmp_eq_u32_sdwa vcc, v2, v60 src0_sel:WORD_0 src1_sel:DWORD
	v_cndmask_b32_e32 v4, v3, v2, vcc
; %bb.242:                              ;   in Loop: Header=BB4_126 Depth=2
	s_or_b64 exec, exec, s[50:51]
	v_lshlrev_b32_e32 v2, 16, v28
	v_lshlrev_b32_e32 v6, 16, v34
	v_pk_add_f32 v[2:3], v[2:3], v[6:7] op_sel_hi:[0,1]
	v_and_b32_e32 v3, 0x7f800000, v2
	v_cmp_ne_u32_e32 vcc, s70, v3
                                        ; implicit-def: $vgpr5
	s_and_saveexec_b64 s[50:51], vcc
	s_xor_b64 vcc, exec, s[50:51]
; %bb.243:                              ;   in Loop: Header=BB4_126 Depth=2
	v_bfe_u32 v3, v2, 16, 1
	v_add3_u32 v5, v2, v3, s71
                                        ; implicit-def: $vgpr2_vgpr3
; %bb.244:                              ;   in Loop: Header=BB4_126 Depth=2
	s_andn2_saveexec_b64 s[50:51], vcc
; %bb.245:                              ;   in Loop: Header=BB4_126 Depth=2
	v_or_b32_e32 v3, 0x10000, v2
	v_cmp_eq_u32_sdwa vcc, v2, v60 src0_sel:WORD_0 src1_sel:DWORD
	v_cndmask_b32_e32 v5, v3, v2, vcc
; %bb.246:                              ;   in Loop: Header=BB4_126 Depth=2
	s_or_b64 exec, exec, s[50:51]
	v_and_b32_e32 v2, 0xffff0000, v28
	v_and_b32_e32 v6, 0xffff0000, v34
	v_pk_add_f32 v[2:3], v[2:3], v[6:7] op_sel_hi:[0,1]
	v_and_b32_e32 v3, 0x7f800000, v2
	v_cmp_ne_u32_e32 vcc, s70, v3
                                        ; implicit-def: $vgpr28
	s_and_saveexec_b64 s[50:51], vcc
	s_xor_b64 vcc, exec, s[50:51]
; %bb.247:                              ;   in Loop: Header=BB4_126 Depth=2
	v_bfe_u32 v3, v2, 16, 1
	v_add3_u32 v28, v2, v3, s71
                                        ; implicit-def: $vgpr2_vgpr3
; %bb.248:                              ;   in Loop: Header=BB4_126 Depth=2
	s_andn2_saveexec_b64 s[50:51], vcc
; %bb.249:                              ;   in Loop: Header=BB4_126 Depth=2
	v_or_b32_e32 v3, 0x10000, v2
	v_cmp_eq_u32_sdwa vcc, v2, v60 src0_sel:WORD_0 src1_sel:DWORD
	v_cndmask_b32_e32 v28, v3, v2, vcc
; %bb.250:                              ;   in Loop: Header=BB4_126 Depth=2
	s_or_b64 exec, exec, s[50:51]
	v_mov_b32_e32 v3, v35
	v_lshlrev_b32_e32 v2, 16, v29
	v_lshlrev_b32_e32 v6, 16, v3
	v_pk_add_f32 v[26:27], v[2:3], v[6:7] op_sel_hi:[0,1]
	v_and_b32_e32 v2, 0x7f800000, v26
	v_cmp_ne_u32_e32 vcc, s70, v2
                                        ; implicit-def: $vgpr6
	s_and_saveexec_b64 s[50:51], vcc
	s_xor_b64 vcc, exec, s[50:51]
; %bb.251:                              ;   in Loop: Header=BB4_126 Depth=2
	v_bfe_u32 v2, v26, 16, 1
	v_add3_u32 v6, v26, v2, s71
                                        ; implicit-def: $vgpr26_vgpr27
; %bb.252:                              ;   in Loop: Header=BB4_126 Depth=2
	s_andn2_saveexec_b64 s[50:51], vcc
; %bb.253:                              ;   in Loop: Header=BB4_126 Depth=2
	v_or_b32_e32 v2, 0x10000, v26
	v_cmp_eq_u32_sdwa vcc, v26, v60 src0_sel:WORD_0 src1_sel:DWORD
	v_cndmask_b32_e32 v6, v2, v26, vcc
; %bb.254:                              ;   in Loop: Header=BB4_126 Depth=2
	s_or_b64 exec, exec, s[50:51]
	v_and_b32_e32 v2, 0xffff0000, v29
	v_and_b32_e32 v8, 0xffff0000, v3
	v_pk_add_f32 v[2:3], v[2:3], v[8:9] op_sel_hi:[0,1]
	v_and_b32_e32 v3, 0x7f800000, v2
	v_cmp_ne_u32_e32 vcc, s70, v3
                                        ; implicit-def: $vgpr7
	s_and_saveexec_b64 s[50:51], vcc
	s_xor_b64 vcc, exec, s[50:51]
; %bb.255:                              ;   in Loop: Header=BB4_126 Depth=2
	v_bfe_u32 v3, v2, 16, 1
	v_add3_u32 v7, v2, v3, s71
                                        ; implicit-def: $vgpr2_vgpr3
; %bb.256:                              ;   in Loop: Header=BB4_126 Depth=2
	s_andn2_saveexec_b64 s[50:51], vcc
	s_cbranch_execz .LBB4_125
; %bb.257:                              ;   in Loop: Header=BB4_126 Depth=2
	v_or_b32_e32 v3, 0x10000, v2
	v_cmp_eq_u32_sdwa vcc, v2, v60 src0_sel:WORD_0 src1_sel:DWORD
	v_cndmask_b32_e32 v7, v3, v2, vcc
	s_branch .LBB4_125
.LBB4_258:                              ;   in Loop: Header=BB4_49 Depth=1
	s_or_b64 exec, exec, s[24:25]
	s_and_b64 s[24:25], s[26:27], exec
	v_mov_b32_e32 v31, v9
	v_accvgpr_read_b32 v27, a1
	v_accvgpr_read_b32 v29, a15
	v_accvgpr_read_b32 v30, a25
	v_accvgpr_read_b32 v32, a26
	v_accvgpr_read_b32 v34, a28
	v_accvgpr_read_b32 v33, a27
	v_accvgpr_read_b32 v35, a33
	v_accvgpr_read_b32 v36, a34
	v_accvgpr_read_b32 v38, a36
	v_accvgpr_read_b32 v37, a35
	v_accvgpr_read_b32 v39, a37
	v_accvgpr_read_b32 v48, a38
	v_accvgpr_read_b32 v50, a40
	v_accvgpr_read_b32 v49, a39
	v_accvgpr_read_b32 v51, a41
	v_accvgpr_read_b32 v52, a42
	v_mov_b32_e32 v53, 0x100
	v_mov_b32_e32 v55, 1
	;; [unrolled: 1-line block ×3, first 2 shown]
	v_accvgpr_read_b32 v44, a48
	v_accvgpr_read_b32 v41, a50
	;; [unrolled: 1-line block ×3, first 2 shown]
.LBB4_259:                              ;   in Loop: Header=BB4_49 Depth=1
	s_or_b64 exec, exec, s[22:23]
	s_and_saveexec_b64 s[22:23], s[24:25]
	s_cbranch_execz .LBB4_325
; %bb.260:                              ;   in Loop: Header=BB4_49 Depth=1
	v_lshlrev_b32_e32 v2, 16, v22
	v_lshlrev_b32_e32 v4, 16, v18
	v_pk_add_f32 v[2:3], v[2:3], v[4:5] op_sel_hi:[0,1]
	v_and_b32_e32 v3, 0x7f800000, v2
	v_cmp_ne_u32_e32 vcc, s70, v3
                                        ; implicit-def: $vgpr26
	s_and_saveexec_b64 s[24:25], vcc
	s_xor_b64 s[24:25], exec, s[24:25]
; %bb.261:                              ;   in Loop: Header=BB4_49 Depth=1
	v_bfe_u32 v3, v2, 16, 1
	v_add3_u32 v26, v2, v3, s71
                                        ; implicit-def: $vgpr2_vgpr3
; %bb.262:                              ;   in Loop: Header=BB4_49 Depth=1
	s_andn2_saveexec_b64 s[24:25], s[24:25]
; %bb.263:                              ;   in Loop: Header=BB4_49 Depth=1
	v_or_b32_e32 v3, 0x10000, v2
	v_cmp_eq_u32_sdwa vcc, v2, v60 src0_sel:WORD_0 src1_sel:DWORD
	v_cndmask_b32_e32 v26, v3, v2, vcc
; %bb.264:                              ;   in Loop: Header=BB4_49 Depth=1
	s_or_b64 exec, exec, s[24:25]
	v_mov_b32_e32 v2, v18
	v_mov_b32_e32 v3, v22
	v_and_b32_e32 v4, 0xffff0000, v3
	v_and_b32_e32 v2, 0xffff0000, v2
	v_pk_add_f32 v[2:3], v[4:5], v[2:3] op_sel_hi:[0,1]
	v_and_b32_e32 v3, 0x7f800000, v2
	v_cmp_ne_u32_e32 vcc, s70, v3
                                        ; implicit-def: $vgpr18
	s_and_saveexec_b64 s[24:25], vcc
	s_xor_b64 s[24:25], exec, s[24:25]
; %bb.265:                              ;   in Loop: Header=BB4_49 Depth=1
	v_bfe_u32 v3, v2, 16, 1
	v_add3_u32 v18, v2, v3, s71
                                        ; implicit-def: $vgpr2_vgpr3
; %bb.266:                              ;   in Loop: Header=BB4_49 Depth=1
	s_andn2_saveexec_b64 s[24:25], s[24:25]
; %bb.267:                              ;   in Loop: Header=BB4_49 Depth=1
	v_or_b32_e32 v3, 0x10000, v2
	v_cmp_eq_u32_sdwa vcc, v2, v60 src0_sel:WORD_0 src1_sel:DWORD
	v_cndmask_b32_e32 v18, v3, v2, vcc
; %bb.268:                              ;   in Loop: Header=BB4_49 Depth=1
	s_or_b64 exec, exec, s[24:25]
	v_lshlrev_b32_e32 v2, 16, v23
	v_lshlrev_b32_e32 v4, 16, v19
	v_pk_add_f32 v[2:3], v[2:3], v[4:5] op_sel_hi:[0,1]
	v_and_b32_e32 v3, 0x7f800000, v2
	v_cmp_ne_u32_e32 vcc, s70, v3
                                        ; implicit-def: $vgpr22
	s_and_saveexec_b64 s[24:25], vcc
	s_xor_b64 s[24:25], exec, s[24:25]
; %bb.269:                              ;   in Loop: Header=BB4_49 Depth=1
	v_bfe_u32 v3, v2, 16, 1
	v_add3_u32 v22, v2, v3, s71
                                        ; implicit-def: $vgpr2_vgpr3
; %bb.270:                              ;   in Loop: Header=BB4_49 Depth=1
	s_andn2_saveexec_b64 s[24:25], s[24:25]
; %bb.271:                              ;   in Loop: Header=BB4_49 Depth=1
	v_or_b32_e32 v3, 0x10000, v2
	v_cmp_eq_u32_sdwa vcc, v2, v60 src0_sel:WORD_0 src1_sel:DWORD
	v_cndmask_b32_e32 v22, v3, v2, vcc
; %bb.272:                              ;   in Loop: Header=BB4_49 Depth=1
	s_or_b64 exec, exec, s[24:25]
	v_mov_b32_e32 v2, v19
	v_and_b32_e32 v4, 0xffff0000, v23
	v_and_b32_e32 v2, 0xffff0000, v2
	v_pk_add_f32 v[2:3], v[4:5], v[2:3] op_sel_hi:[0,1]
	v_and_b32_e32 v3, 0x7f800000, v2
	v_cmp_ne_u32_e32 vcc, s70, v3
                                        ; implicit-def: $vgpr19
	s_and_saveexec_b64 s[24:25], vcc
	s_xor_b64 s[24:25], exec, s[24:25]
; %bb.273:                              ;   in Loop: Header=BB4_49 Depth=1
	v_bfe_u32 v3, v2, 16, 1
	v_add3_u32 v19, v2, v3, s71
                                        ; implicit-def: $vgpr2_vgpr3
; %bb.274:                              ;   in Loop: Header=BB4_49 Depth=1
	s_andn2_saveexec_b64 s[24:25], s[24:25]
; %bb.275:                              ;   in Loop: Header=BB4_49 Depth=1
	v_or_b32_e32 v3, 0x10000, v2
	v_cmp_eq_u32_sdwa vcc, v2, v60 src0_sel:WORD_0 src1_sel:DWORD
	v_cndmask_b32_e32 v19, v3, v2, vcc
; %bb.276:                              ;   in Loop: Header=BB4_49 Depth=1
	s_or_b64 exec, exec, s[24:25]
	v_lshlrev_b32_e32 v2, 16, v24
	v_lshlrev_b32_e32 v4, 16, v20
	v_pk_add_f32 v[2:3], v[2:3], v[4:5] op_sel_hi:[0,1]
	v_and_b32_e32 v3, 0x7f800000, v2
	v_cmp_ne_u32_e32 vcc, s70, v3
                                        ; implicit-def: $vgpr23
	s_and_saveexec_b64 s[24:25], vcc
	s_xor_b64 s[24:25], exec, s[24:25]
; %bb.277:                              ;   in Loop: Header=BB4_49 Depth=1
	v_bfe_u32 v3, v2, 16, 1
	v_add3_u32 v23, v2, v3, s71
                                        ; implicit-def: $vgpr2_vgpr3
; %bb.278:                              ;   in Loop: Header=BB4_49 Depth=1
	s_andn2_saveexec_b64 s[24:25], s[24:25]
; %bb.279:                              ;   in Loop: Header=BB4_49 Depth=1
	v_or_b32_e32 v3, 0x10000, v2
	v_cmp_eq_u32_sdwa vcc, v2, v60 src0_sel:WORD_0 src1_sel:DWORD
	v_cndmask_b32_e32 v23, v3, v2, vcc
; %bb.280:                              ;   in Loop: Header=BB4_49 Depth=1
	s_or_b64 exec, exec, s[24:25]
	v_mov_b32_e32 v2, v20
	v_mov_b32_e32 v3, v24
	v_and_b32_e32 v4, 0xffff0000, v3
	v_and_b32_e32 v2, 0xffff0000, v2
	v_pk_add_f32 v[2:3], v[4:5], v[2:3] op_sel_hi:[0,1]
	v_and_b32_e32 v3, 0x7f800000, v2
	v_cmp_ne_u32_e32 vcc, s70, v3
                                        ; implicit-def: $vgpr20
	s_and_saveexec_b64 s[24:25], vcc
	s_xor_b64 s[24:25], exec, s[24:25]
; %bb.281:                              ;   in Loop: Header=BB4_49 Depth=1
	v_bfe_u32 v3, v2, 16, 1
	v_add3_u32 v20, v2, v3, s71
                                        ; implicit-def: $vgpr2_vgpr3
; %bb.282:                              ;   in Loop: Header=BB4_49 Depth=1
	s_andn2_saveexec_b64 s[24:25], s[24:25]
; %bb.283:                              ;   in Loop: Header=BB4_49 Depth=1
	v_or_b32_e32 v3, 0x10000, v2
	v_cmp_eq_u32_sdwa vcc, v2, v60 src0_sel:WORD_0 src1_sel:DWORD
	v_cndmask_b32_e32 v20, v3, v2, vcc
; %bb.284:                              ;   in Loop: Header=BB4_49 Depth=1
	s_or_b64 exec, exec, s[24:25]
	v_lshlrev_b32_e32 v2, 16, v25
	v_lshlrev_b32_e32 v4, 16, v21
	v_pk_add_f32 v[2:3], v[2:3], v[4:5] op_sel_hi:[0,1]
	v_and_b32_e32 v3, 0x7f800000, v2
	v_cmp_ne_u32_e32 vcc, s70, v3
                                        ; implicit-def: $vgpr24
	s_and_saveexec_b64 s[24:25], vcc
	s_xor_b64 s[24:25], exec, s[24:25]
; %bb.285:                              ;   in Loop: Header=BB4_49 Depth=1
	v_bfe_u32 v3, v2, 16, 1
	v_add3_u32 v24, v2, v3, s71
                                        ; implicit-def: $vgpr2_vgpr3
; %bb.286:                              ;   in Loop: Header=BB4_49 Depth=1
	s_andn2_saveexec_b64 s[24:25], s[24:25]
; %bb.287:                              ;   in Loop: Header=BB4_49 Depth=1
	v_or_b32_e32 v3, 0x10000, v2
	v_cmp_eq_u32_sdwa vcc, v2, v60 src0_sel:WORD_0 src1_sel:DWORD
	v_cndmask_b32_e32 v24, v3, v2, vcc
; %bb.288:                              ;   in Loop: Header=BB4_49 Depth=1
	s_or_b64 exec, exec, s[24:25]
	v_mov_b32_e32 v2, v21
	v_and_b32_e32 v4, 0xffff0000, v25
	v_and_b32_e32 v2, 0xffff0000, v2
	v_pk_add_f32 v[2:3], v[4:5], v[2:3] op_sel_hi:[0,1]
	v_and_b32_e32 v3, 0x7f800000, v2
	v_cmp_ne_u32_e32 vcc, s70, v3
                                        ; implicit-def: $vgpr21
	s_and_saveexec_b64 s[24:25], vcc
	s_xor_b64 s[24:25], exec, s[24:25]
; %bb.289:                              ;   in Loop: Header=BB4_49 Depth=1
	v_bfe_u32 v3, v2, 16, 1
	v_add3_u32 v21, v2, v3, s71
                                        ; implicit-def: $vgpr2_vgpr3
; %bb.290:                              ;   in Loop: Header=BB4_49 Depth=1
	s_andn2_saveexec_b64 s[24:25], s[24:25]
; %bb.291:                              ;   in Loop: Header=BB4_49 Depth=1
	v_or_b32_e32 v3, 0x10000, v2
	v_cmp_eq_u32_sdwa vcc, v2, v60 src0_sel:WORD_0 src1_sel:DWORD
	v_cndmask_b32_e32 v21, v3, v2, vcc
; %bb.292:                              ;   in Loop: Header=BB4_49 Depth=1
	s_or_b64 exec, exec, s[24:25]
	v_lshlrev_b32_e32 v2, 16, v14
	v_lshlrev_b32_e32 v4, 16, v10
	v_pk_add_f32 v[2:3], v[2:3], v[4:5] op_sel_hi:[0,1]
	v_and_b32_e32 v3, 0x7f800000, v2
	v_cmp_ne_u32_e32 vcc, s70, v3
                                        ; implicit-def: $vgpr25
	s_and_saveexec_b64 s[24:25], vcc
	s_xor_b64 s[24:25], exec, s[24:25]
; %bb.293:                              ;   in Loop: Header=BB4_49 Depth=1
	v_bfe_u32 v3, v2, 16, 1
	v_add3_u32 v25, v2, v3, s71
                                        ; implicit-def: $vgpr2_vgpr3
; %bb.294:                              ;   in Loop: Header=BB4_49 Depth=1
	s_andn2_saveexec_b64 s[24:25], s[24:25]
; %bb.295:                              ;   in Loop: Header=BB4_49 Depth=1
	v_or_b32_e32 v3, 0x10000, v2
	v_cmp_eq_u32_sdwa vcc, v2, v60 src0_sel:WORD_0 src1_sel:DWORD
	v_cndmask_b32_e32 v25, v3, v2, vcc
; %bb.296:                              ;   in Loop: Header=BB4_49 Depth=1
	s_or_b64 exec, exec, s[24:25]
	v_mov_b32_e32 v2, v10
	v_mov_b32_e32 v3, v14
	v_and_b32_e32 v4, 0xffff0000, v3
	v_and_b32_e32 v2, 0xffff0000, v2
	v_pk_add_f32 v[2:3], v[4:5], v[2:3] op_sel_hi:[0,1]
	v_and_b32_e32 v3, 0x7f800000, v2
	v_cmp_ne_u32_e32 vcc, s70, v3
                                        ; implicit-def: $vgpr10
	s_and_saveexec_b64 s[24:25], vcc
	s_xor_b64 s[24:25], exec, s[24:25]
; %bb.297:                              ;   in Loop: Header=BB4_49 Depth=1
	v_bfe_u32 v3, v2, 16, 1
	v_add3_u32 v10, v2, v3, s71
                                        ; implicit-def: $vgpr2_vgpr3
; %bb.298:                              ;   in Loop: Header=BB4_49 Depth=1
	s_andn2_saveexec_b64 s[24:25], s[24:25]
; %bb.299:                              ;   in Loop: Header=BB4_49 Depth=1
	v_or_b32_e32 v3, 0x10000, v2
	v_cmp_eq_u32_sdwa vcc, v2, v60 src0_sel:WORD_0 src1_sel:DWORD
	v_cndmask_b32_e32 v10, v3, v2, vcc
; %bb.300:                              ;   in Loop: Header=BB4_49 Depth=1
	s_or_b64 exec, exec, s[24:25]
	v_lshlrev_b32_e32 v2, 16, v15
	v_lshlrev_b32_e32 v4, 16, v11
	v_pk_add_f32 v[2:3], v[2:3], v[4:5] op_sel_hi:[0,1]
	v_and_b32_e32 v3, 0x7f800000, v2
	v_cmp_ne_u32_e32 vcc, s70, v3
                                        ; implicit-def: $vgpr14
	s_and_saveexec_b64 s[24:25], vcc
	s_xor_b64 s[24:25], exec, s[24:25]
; %bb.301:                              ;   in Loop: Header=BB4_49 Depth=1
	v_bfe_u32 v3, v2, 16, 1
	v_add3_u32 v14, v2, v3, s71
                                        ; implicit-def: $vgpr2_vgpr3
; %bb.302:                              ;   in Loop: Header=BB4_49 Depth=1
	s_andn2_saveexec_b64 s[24:25], s[24:25]
; %bb.303:                              ;   in Loop: Header=BB4_49 Depth=1
	v_or_b32_e32 v3, 0x10000, v2
	v_cmp_eq_u32_sdwa vcc, v2, v60 src0_sel:WORD_0 src1_sel:DWORD
	v_cndmask_b32_e32 v14, v3, v2, vcc
; %bb.304:                              ;   in Loop: Header=BB4_49 Depth=1
	s_or_b64 exec, exec, s[24:25]
	v_mov_b32_e32 v2, v11
	v_and_b32_e32 v4, 0xffff0000, v15
	v_and_b32_e32 v2, 0xffff0000, v2
	v_pk_add_f32 v[2:3], v[4:5], v[2:3] op_sel_hi:[0,1]
	v_and_b32_e32 v3, 0x7f800000, v2
	v_cmp_ne_u32_e32 vcc, s70, v3
                                        ; implicit-def: $vgpr4
	s_and_saveexec_b64 s[24:25], vcc
	s_xor_b64 s[24:25], exec, s[24:25]
; %bb.305:                              ;   in Loop: Header=BB4_49 Depth=1
	v_bfe_u32 v3, v2, 16, 1
	v_add3_u32 v4, v2, v3, s71
                                        ; implicit-def: $vgpr2_vgpr3
; %bb.306:                              ;   in Loop: Header=BB4_49 Depth=1
	s_andn2_saveexec_b64 s[24:25], s[24:25]
; %bb.307:                              ;   in Loop: Header=BB4_49 Depth=1
	v_or_b32_e32 v3, 0x10000, v2
	v_cmp_eq_u32_sdwa vcc, v2, v60 src0_sel:WORD_0 src1_sel:DWORD
	v_cndmask_b32_e32 v4, v3, v2, vcc
; %bb.308:                              ;   in Loop: Header=BB4_49 Depth=1
	s_or_b64 exec, exec, s[24:25]
	v_lshlrev_b32_e32 v2, 16, v16
	v_lshlrev_b32_e32 v6, 16, v12
	v_pk_add_f32 v[2:3], v[2:3], v[6:7] op_sel_hi:[0,1]
	v_and_b32_e32 v3, 0x7f800000, v2
	v_cmp_ne_u32_e32 vcc, s70, v3
                                        ; implicit-def: $vgpr5
	s_and_saveexec_b64 s[24:25], vcc
	s_xor_b64 s[24:25], exec, s[24:25]
; %bb.309:                              ;   in Loop: Header=BB4_49 Depth=1
	v_bfe_u32 v3, v2, 16, 1
	v_add3_u32 v5, v2, v3, s71
                                        ; implicit-def: $vgpr2_vgpr3
; %bb.310:                              ;   in Loop: Header=BB4_49 Depth=1
	s_andn2_saveexec_b64 s[24:25], s[24:25]
; %bb.311:                              ;   in Loop: Header=BB4_49 Depth=1
	v_or_b32_e32 v3, 0x10000, v2
	v_cmp_eq_u32_sdwa vcc, v2, v60 src0_sel:WORD_0 src1_sel:DWORD
	v_cndmask_b32_e32 v5, v3, v2, vcc
; %bb.312:                              ;   in Loop: Header=BB4_49 Depth=1
	s_or_b64 exec, exec, s[24:25]
	v_mov_b32_e32 v2, v12
	v_mov_b32_e32 v3, v16
	v_and_b32_e32 v6, 0xffff0000, v3
	v_and_b32_e32 v2, 0xffff0000, v2
	v_pk_add_f32 v[2:3], v[6:7], v[2:3] op_sel_hi:[0,1]
	v_and_b32_e32 v3, 0x7f800000, v2
	v_cmp_ne_u32_e32 vcc, s70, v3
                                        ; implicit-def: $vgpr11
	s_and_saveexec_b64 s[24:25], vcc
	s_xor_b64 s[24:25], exec, s[24:25]
; %bb.313:                              ;   in Loop: Header=BB4_49 Depth=1
	v_bfe_u32 v3, v2, 16, 1
	v_add3_u32 v11, v2, v3, s71
                                        ; implicit-def: $vgpr2_vgpr3
; %bb.314:                              ;   in Loop: Header=BB4_49 Depth=1
	s_andn2_saveexec_b64 s[24:25], s[24:25]
; %bb.315:                              ;   in Loop: Header=BB4_49 Depth=1
	v_or_b32_e32 v3, 0x10000, v2
	v_cmp_eq_u32_sdwa vcc, v2, v60 src0_sel:WORD_0 src1_sel:DWORD
	v_cndmask_b32_e32 v11, v3, v2, vcc
; %bb.316:                              ;   in Loop: Header=BB4_49 Depth=1
	s_or_b64 exec, exec, s[24:25]
	v_lshlrev_b32_e32 v2, 16, v17
	v_lshlrev_b32_e32 v6, 16, v13
	v_pk_add_f32 v[2:3], v[2:3], v[6:7] op_sel_hi:[0,1]
	v_and_b32_e32 v3, 0x7f800000, v2
	v_cmp_ne_u32_e32 vcc, s70, v3
                                        ; implicit-def: $vgpr6
	s_and_saveexec_b64 s[24:25], vcc
	s_xor_b64 s[24:25], exec, s[24:25]
; %bb.317:                              ;   in Loop: Header=BB4_49 Depth=1
	v_bfe_u32 v3, v2, 16, 1
	v_add3_u32 v6, v2, v3, s71
                                        ; implicit-def: $vgpr2_vgpr3
; %bb.318:                              ;   in Loop: Header=BB4_49 Depth=1
	s_andn2_saveexec_b64 s[24:25], s[24:25]
; %bb.319:                              ;   in Loop: Header=BB4_49 Depth=1
	v_or_b32_e32 v3, 0x10000, v2
	v_cmp_eq_u32_sdwa vcc, v2, v60 src0_sel:WORD_0 src1_sel:DWORD
	v_cndmask_b32_e32 v6, v3, v2, vcc
; %bb.320:                              ;   in Loop: Header=BB4_49 Depth=1
	s_or_b64 exec, exec, s[24:25]
	v_mov_b32_e32 v2, v13
	v_and_b32_e32 v8, 0xffff0000, v17
	v_and_b32_e32 v2, 0xffff0000, v2
	v_pk_add_f32 v[2:3], v[8:9], v[2:3] op_sel_hi:[0,1]
	v_and_b32_e32 v3, 0x7f800000, v2
	v_cmp_ne_u32_e32 vcc, s70, v3
                                        ; implicit-def: $vgpr7
	s_and_saveexec_b64 s[24:25], vcc
	s_xor_b64 s[24:25], exec, s[24:25]
; %bb.321:                              ;   in Loop: Header=BB4_49 Depth=1
	v_bfe_u32 v3, v2, 16, 1
	v_add3_u32 v7, v2, v3, s71
                                        ; implicit-def: $vgpr2_vgpr3
; %bb.322:                              ;   in Loop: Header=BB4_49 Depth=1
	s_andn2_saveexec_b64 s[24:25], s[24:25]
; %bb.323:                              ;   in Loop: Header=BB4_49 Depth=1
	v_or_b32_e32 v3, 0x10000, v2
	v_cmp_eq_u32_sdwa vcc, v2, v60 src0_sel:WORD_0 src1_sel:DWORD
	v_cndmask_b32_e32 v7, v3, v2, vcc
; %bb.324:                              ;   in Loop: Header=BB4_49 Depth=1
	s_or_b64 exec, exec, s[24:25]
	v_lshrrev_b32_e32 v2, 16, v22
	v_and_or_b32 v17, v19, s72, v2
	v_lshrrev_b32_e32 v2, 16, v26
	v_and_or_b32 v16, v18, s72, v2
	;; [unrolled: 2-line block ×5, first 2 shown]
	v_lshrrev_b32_e32 v2, 16, v25
	v_lshrrev_b32_e32 v4, 16, v5
	;; [unrolled: 1-line block ×3, first 2 shown]
	v_and_or_b32 v2, v10, s72, v2
	v_and_or_b32 v4, v11, s72, v4
	v_and_or_b32 v5, v7, s72, v5
	global_store_dwordx4 v[0:1], v[16:19], off glc slc
	global_store_dwordx4 v[0:1], v[2:5], off offset:1024 glc slc
.LBB4_325:                              ;   in Loop: Header=BB4_49 Depth=1
	s_or_b64 exec, exec, s[22:23]
	v_accvgpr_read_b32 v0, a54
	v_lshlrev_b32_e32 v14, 11, v0
	v_cmp_ne_u32_e32 vcc, v45, v14
	s_mov_b64 s[22:23], 0
	v_mov_b32_e32 v19, 0
                                        ; implicit-def: $vgpr20
                                        ; implicit-def: $vgpr0
	s_and_saveexec_b64 s[48:49], vcc
	s_cbranch_execz .LBB4_440
; %bb.326:                              ;   in Loop: Header=BB4_49 Depth=1
	v_lshlrev_b32_e32 v1, 6, v61
	v_sub_u32_e32 v1, v30, v1
	v_ashrrev_i32_e32 v2, 31, v1
	v_lshrrev_b32_e32 v2, 26, v2
	v_add_u32_e32 v2, v1, v2
	v_ashrrev_i32_e32 v3, 6, v2
	v_and_b32_e32 v2, 0xffffffc0, v2
	v_sub_u32_e32 v15, v1, v2
	v_lshlrev_b32_e32 v1, 4, v15
	v_sub_u32_e32 v0, v45, v14
	v_lshl_add_u32 v1, v3, 10, v1
	v_add_u32_e32 v10, v1, v14
	v_sub_u32_e32 v19, v0, v1
	v_ashrrev_i32_e32 v1, 31, v0
	v_lshrrev_b32_e32 v1, 22, v1
	v_add_u32_e32 v1, v0, v1
	v_and_b32_e32 v16, 0xfffffc00, v1
	v_sub_u32_e32 v17, v0, v16
	v_ashrrev_i32_e32 v2, 10, v1
	v_cmp_lt_i32_e64 s[22:23], 15, v17
	v_addc_co_u32_e64 v0, vcc, 0, v2, s[22:23]
	v_sub_u32_e32 v18, v0, v3
	v_accvgpr_read_b32 v0, a52
	v_ashrrev_i32_e32 v11, 31, v10
	v_accvgpr_read_b32 v1, a53
	v_add_co_u32_e32 v0, vcc, v10, v0
	v_addc_co_u32_e32 v1, vcc, v11, v1, vcc
	v_cmp_lt_i32_e32 vcc, 15, v19
	s_mov_b64 s[26:27], 0
	s_and_saveexec_b64 s[50:51], vcc
	s_cbranch_execz .LBB4_403
; %bb.327:                              ;   in Loop: Header=BB4_49 Depth=1
	s_trap 2
	ds_read_b128 v[2:5], v0
	s_mov_b64 s[56:57], 0
	s_mov_b64 s[52:53], 0
                                        ; implicit-def: $sgpr54_sgpr55
	s_waitcnt lgkmcnt(0)
	v_add_co_u32_e32 v2, vcc, v2, v10
	v_addc_co_u32_e32 v3, vcc, v3, v11, vcc
	v_add_co_u32_e32 v10, vcc, v4, v10
	v_addc_co_u32_e32 v11, vcc, v5, v11, vcc
	s_branch .LBB4_329
.LBB4_328:                              ;   in Loop: Header=BB4_329 Depth=2
	s_or_b64 exec, exec, s[24:25]
	v_cmp_gt_i32_e32 vcc, 16, v19
	s_or_b64 s[52:53], vcc, s[52:53]
	s_andn2_b64 s[24:25], s[54:55], exec
	s_and_b64 s[26:27], s[56:57], exec
	s_or_b64 s[54:55], s[24:25], s[26:27]
	s_andn2_b64 exec, exec, s[52:53]
	s_cbranch_execz .LBB4_402
.LBB4_329:                              ;   Parent Loop BB4_49 Depth=1
                                        ; =>  This Loop Header: Depth=2
                                        ;       Child Loop BB4_330 Depth 3
                                        ;       Child Loop BB4_367 Depth 3
	v_lshrrev_b32_e64 v4, 6, s33
	v_add_u32_e32 v4, 0xa0, v4
	s_mov_b64 s[58:59], -1
	s_mov_b64 s[60:61], 0
.LBB4_330:                              ;   Parent Loop BB4_49 Depth=1
                                        ;     Parent Loop BB4_329 Depth=2
                                        ; =>    This Inner Loop Header: Depth=3
	s_cmp_eq_u32 s60, 1
	s_cselect_b64 s[24:25], -1, 0
	v_cndmask_b32_e64 v13, v3, v11, s[24:25]
	v_cndmask_b32_e64 v12, v2, v10, s[24:25]
	global_load_dwordx4 v[6:9], v[12:13], off glc slc
	v_add_co_u32_e32 v5, vcc, s67, v12
	s_cmp_eq_u32 s60, 0
	v_addc_co_u32_e32 v12, vcc, 0, v13, vcc
	s_cselect_b64 vcc, -1, 0
	s_and_b64 s[26:27], exec, s[58:59]
	s_mov_b64 s[60:61], 1
	v_cndmask_b32_e64 v10, v10, v5, s[24:25]
	s_mov_b64 s[58:59], 0
	v_cndmask_b32_e32 v3, v3, v12, vcc
	v_cndmask_b32_e32 v2, v2, v5, vcc
	v_cndmask_b32_e64 v11, v11, v12, s[24:25]
	s_mov_b64 vcc, s[26:27]
	s_waitcnt vmcnt(0)
	buffer_store_dword v7, v4, s[0:3], 0 offen offset:4
	buffer_store_dword v6, v4, s[0:3], 0 offen
	buffer_store_dword v9, v4, s[0:3], 0 offen offset:12
	buffer_store_dword v8, v4, s[0:3], 0 offen offset:8
	v_mov_b32_e32 v4, v54
	s_cbranch_vccnz .LBB4_330
; %bb.331:                              ;   in Loop: Header=BB4_329 Depth=2
	s_and_saveexec_b64 s[24:25], s[56:57]
	s_cbranch_execz .LBB4_365
; %bb.332:                              ;   in Loop: Header=BB4_329 Depth=2
	buffer_load_dword v7, off, s[0:3], s33 offset:208
	buffer_load_dword v6, off, s[0:3], s33 offset:192
	;; [unrolled: 1-line block ×8, first 2 shown]
                                        ; implicit-def: $vgpr20
	s_waitcnt vmcnt(7)
	v_lshlrev_b32_e32 v8, 16, v7
	s_waitcnt vmcnt(6)
	v_lshlrev_b32_e32 v12, 16, v6
	v_pk_add_f32 v[12:13], v[8:9], v[12:13] op_sel_hi:[0,1]
	v_and_b32_e32 v8, 0x7f800000, v12
	v_cmp_ne_u32_e32 vcc, s70, v8
	s_and_saveexec_b64 s[26:27], vcc
	s_xor_b64 s[26:27], exec, s[26:27]
; %bb.333:                              ;   in Loop: Header=BB4_329 Depth=2
	v_bfe_u32 v8, v12, 16, 1
	v_add3_u32 v20, v12, v8, s71
                                        ; implicit-def: $vgpr12_vgpr13
; %bb.334:                              ;   in Loop: Header=BB4_329 Depth=2
	s_andn2_saveexec_b64 s[26:27], s[26:27]
; %bb.335:                              ;   in Loop: Header=BB4_329 Depth=2
	v_or_b32_e32 v8, 0x10000, v12
	v_cmp_eq_u32_sdwa vcc, v12, v60 src0_sel:WORD_0 src1_sel:DWORD
	v_cndmask_b32_e32 v20, v8, v12, vcc
; %bb.336:                              ;   in Loop: Header=BB4_329 Depth=2
	s_or_b64 exec, exec, s[26:27]
	v_and_b32_e32 v8, 0xffff0000, v7
	v_and_b32_e32 v6, 0xffff0000, v6
	v_pk_add_f32 v[12:13], v[8:9], v[6:7] op_sel_hi:[0,1]
	v_and_b32_e32 v6, 0x7f800000, v12
	v_cmp_ne_u32_e32 vcc, s70, v6
                                        ; implicit-def: $vgpr23
	s_and_saveexec_b64 s[26:27], vcc
	s_xor_b64 s[26:27], exec, s[26:27]
; %bb.337:                              ;   in Loop: Header=BB4_329 Depth=2
	v_bfe_u32 v6, v12, 16, 1
	v_add3_u32 v23, v12, v6, s71
                                        ; implicit-def: $vgpr12_vgpr13
; %bb.338:                              ;   in Loop: Header=BB4_329 Depth=2
	s_andn2_saveexec_b64 s[26:27], s[26:27]
; %bb.339:                              ;   in Loop: Header=BB4_329 Depth=2
	v_or_b32_e32 v6, 0x10000, v12
	v_cmp_eq_u32_sdwa vcc, v12, v60 src0_sel:WORD_0 src1_sel:DWORD
	v_cndmask_b32_e32 v23, v6, v12, vcc
; %bb.340:                              ;   in Loop: Header=BB4_329 Depth=2
	s_or_b64 exec, exec, s[26:27]
	s_waitcnt vmcnt(2)
	v_lshlrev_b32_e32 v6, 16, v26
	v_lshlrev_b32_e32 v8, 16, v5
	v_pk_add_f32 v[12:13], v[6:7], v[8:9] op_sel_hi:[0,1]
	v_and_b32_e32 v6, 0x7f800000, v12
	v_cmp_ne_u32_e32 vcc, s70, v6
                                        ; implicit-def: $vgpr24
	s_and_saveexec_b64 s[26:27], vcc
	s_xor_b64 s[26:27], exec, s[26:27]
; %bb.341:                              ;   in Loop: Header=BB4_329 Depth=2
	v_bfe_u32 v6, v12, 16, 1
	v_add3_u32 v24, v12, v6, s71
                                        ; implicit-def: $vgpr12_vgpr13
; %bb.342:                              ;   in Loop: Header=BB4_329 Depth=2
	s_andn2_saveexec_b64 s[26:27], s[26:27]
; %bb.343:                              ;   in Loop: Header=BB4_329 Depth=2
	v_or_b32_e32 v6, 0x10000, v12
	v_cmp_eq_u32_sdwa vcc, v12, v60 src0_sel:WORD_0 src1_sel:DWORD
	v_cndmask_b32_e32 v24, v6, v12, vcc
; %bb.344:                              ;   in Loop: Header=BB4_329 Depth=2
	s_or_b64 exec, exec, s[26:27]
	v_and_b32_e32 v6, 0xffff0000, v26
	v_and_b32_e32 v8, 0xffff0000, v5
	v_pk_add_f32 v[12:13], v[6:7], v[8:9] op_sel_hi:[0,1]
	v_and_b32_e32 v5, 0x7f800000, v12
	v_cmp_ne_u32_e32 vcc, s70, v5
                                        ; implicit-def: $vgpr26
	s_and_saveexec_b64 s[26:27], vcc
	s_xor_b64 s[26:27], exec, s[26:27]
; %bb.345:                              ;   in Loop: Header=BB4_329 Depth=2
	v_bfe_u32 v5, v12, 16, 1
	v_add3_u32 v26, v12, v5, s71
                                        ; implicit-def: $vgpr12_vgpr13
; %bb.346:                              ;   in Loop: Header=BB4_329 Depth=2
	s_andn2_saveexec_b64 s[26:27], s[26:27]
; %bb.347:                              ;   in Loop: Header=BB4_329 Depth=2
	v_or_b32_e32 v5, 0x10000, v12
	v_cmp_eq_u32_sdwa vcc, v12, v60 src0_sel:WORD_0 src1_sel:DWORD
	v_cndmask_b32_e32 v26, v5, v12, vcc
; %bb.348:                              ;   in Loop: Header=BB4_329 Depth=2
	s_or_b64 exec, exec, s[26:27]
	s_waitcnt vmcnt(1)
	v_lshlrev_b32_e32 v6, 16, v4
	v_lshlrev_b32_e32 v8, 16, v25
	v_pk_add_f32 v[12:13], v[6:7], v[8:9] op_sel_hi:[0,1]
	v_and_b32_e32 v5, 0x7f800000, v12
	v_cmp_ne_u32_e32 vcc, s70, v5
                                        ; implicit-def: $vgpr5
	s_and_saveexec_b64 s[26:27], vcc
	s_xor_b64 s[26:27], exec, s[26:27]
; %bb.349:                              ;   in Loop: Header=BB4_329 Depth=2
	v_bfe_u32 v5, v12, 16, 1
	v_add3_u32 v5, v12, v5, s71
                                        ; implicit-def: $vgpr12_vgpr13
; %bb.350:                              ;   in Loop: Header=BB4_329 Depth=2
	s_andn2_saveexec_b64 s[26:27], s[26:27]
; %bb.351:                              ;   in Loop: Header=BB4_329 Depth=2
	v_or_b32_e32 v5, 0x10000, v12
	v_cmp_eq_u32_sdwa vcc, v12, v60 src0_sel:WORD_0 src1_sel:DWORD
	v_cndmask_b32_e32 v5, v5, v12, vcc
; %bb.352:                              ;   in Loop: Header=BB4_329 Depth=2
	s_or_b64 exec, exec, s[26:27]
	v_and_b32_e32 v4, 0xffff0000, v4
	v_and_b32_e32 v6, 0xffff0000, v25
	v_pk_add_f32 v[12:13], v[4:5], v[6:7] op_sel_hi:[0,1]
	v_and_b32_e32 v4, 0x7f800000, v12
	v_cmp_ne_u32_e32 vcc, s70, v4
                                        ; implicit-def: $vgpr4
	s_and_saveexec_b64 s[26:27], vcc
	s_xor_b64 s[26:27], exec, s[26:27]
; %bb.353:                              ;   in Loop: Header=BB4_329 Depth=2
	v_bfe_u32 v4, v12, 16, 1
	v_add3_u32 v4, v12, v4, s71
                                        ; implicit-def: $vgpr12_vgpr13
; %bb.354:                              ;   in Loop: Header=BB4_329 Depth=2
	s_andn2_saveexec_b64 s[26:27], s[26:27]
; %bb.355:                              ;   in Loop: Header=BB4_329 Depth=2
	v_or_b32_e32 v4, 0x10000, v12
	v_cmp_eq_u32_sdwa vcc, v12, v60 src0_sel:WORD_0 src1_sel:DWORD
	v_cndmask_b32_e32 v4, v4, v12, vcc
; %bb.356:                              ;   in Loop: Header=BB4_329 Depth=2
	s_or_b64 exec, exec, s[26:27]
	s_waitcnt vmcnt(0)
	v_lshlrev_b32_e32 v6, 16, v22
	v_lshlrev_b32_e32 v8, 16, v21
	v_pk_add_f32 v[12:13], v[6:7], v[8:9] op_sel_hi:[0,1]
	v_and_b32_e32 v6, 0x7f800000, v12
	v_cmp_ne_u32_e32 vcc, s70, v6
                                        ; implicit-def: $vgpr6
	s_and_saveexec_b64 s[26:27], vcc
	s_xor_b64 s[26:27], exec, s[26:27]
; %bb.357:                              ;   in Loop: Header=BB4_329 Depth=2
	v_bfe_u32 v6, v12, 16, 1
	v_add3_u32 v6, v12, v6, s71
                                        ; implicit-def: $vgpr12_vgpr13
; %bb.358:                              ;   in Loop: Header=BB4_329 Depth=2
	s_andn2_saveexec_b64 s[26:27], s[26:27]
; %bb.359:                              ;   in Loop: Header=BB4_329 Depth=2
	v_or_b32_e32 v6, 0x10000, v12
	v_cmp_eq_u32_sdwa vcc, v12, v60 src0_sel:WORD_0 src1_sel:DWORD
	v_cndmask_b32_e32 v6, v6, v12, vcc
; %bb.360:                              ;   in Loop: Header=BB4_329 Depth=2
	s_or_b64 exec, exec, s[26:27]
	v_and_b32_e32 v8, 0xffff0000, v22
	v_and_b32_e32 v12, 0xffff0000, v21
	v_pk_add_f32 v[12:13], v[8:9], v[12:13] op_sel_hi:[0,1]
	v_and_b32_e32 v7, 0x7f800000, v12
	v_cmp_ne_u32_e32 vcc, s70, v7
                                        ; implicit-def: $vgpr7
	s_and_saveexec_b64 s[26:27], vcc
	s_xor_b64 s[26:27], exec, s[26:27]
; %bb.361:                              ;   in Loop: Header=BB4_329 Depth=2
	v_bfe_u32 v7, v12, 16, 1
	v_add3_u32 v7, v12, v7, s71
                                        ; implicit-def: $vgpr12_vgpr13
; %bb.362:                              ;   in Loop: Header=BB4_329 Depth=2
	s_andn2_saveexec_b64 s[26:27], s[26:27]
; %bb.363:                              ;   in Loop: Header=BB4_329 Depth=2
	v_or_b32_e32 v7, 0x10000, v12
	v_cmp_eq_u32_sdwa vcc, v12, v60 src0_sel:WORD_0 src1_sel:DWORD
	v_cndmask_b32_e32 v7, v7, v12, vcc
; %bb.364:                              ;   in Loop: Header=BB4_329 Depth=2
	s_or_b64 exec, exec, s[26:27]
	v_lshrrev_b32_e32 v8, 16, v24
	v_lshrrev_b32_e32 v5, 16, v5
	v_and_or_b32 v21, v26, s72, v8
	v_lshrrev_b32_e32 v8, 16, v20
	v_and_or_b32 v22, v4, s72, v5
	v_lshrrev_b32_e32 v4, 16, v6
	v_and_or_b32 v20, v23, s72, v8
	v_and_or_b32 v23, v7, s72, v4
	buffer_store_dword v21, off, s[0:3], s33 offset:196
	buffer_store_dword v20, off, s[0:3], s33 offset:192
	buffer_store_dword v23, off, s[0:3], s33 offset:204
	buffer_store_dword v22, off, s[0:3], s33 offset:200
	global_store_dwordx4 v[0:1], v[20:23], off glc slc
	v_add_co_u32_e32 v0, vcc, v39, v0
	v_addc_co_u32_e32 v1, vcc, v48, v1, vcc
.LBB4_365:                              ;   in Loop: Header=BB4_329 Depth=2
	s_or_b64 exec, exec, s[24:25]
	v_add_co_u32_e32 v2, vcc, v2, v38
	v_addc_co_u32_e32 v3, vcc, v3, v37, vcc
	v_add_co_u32_e32 v10, vcc, v10, v38
	v_sub_u32_e32 v19, v19, v36
	v_addc_co_u32_e32 v11, vcc, v11, v37, vcc
	v_cmp_lt_i32_e64 s[56:57], 15, v19
	s_and_saveexec_b64 s[58:59], s[56:57]
	s_cbranch_execz .LBB4_368
; %bb.366:                              ;   in Loop: Header=BB4_329 Depth=2
	v_lshrrev_b32_e64 v4, 6, s33
	v_add_u32_e32 v4, 0xc0, v4
	s_mov_b64 s[62:63], 0
	s_mov_b64 s[60:61], -1
.LBB4_367:                              ;   Parent Loop BB4_49 Depth=1
                                        ;     Parent Loop BB4_329 Depth=2
                                        ; =>    This Inner Loop Header: Depth=3
	s_cmp_eq_u32 s62, 1
	s_cselect_b64 s[24:25], -1, 0
	v_cndmask_b32_e64 v13, v3, v11, s[24:25]
	v_cndmask_b32_e64 v12, v2, v10, s[24:25]
	global_load_dwordx4 v[6:9], v[12:13], off glc slc
	v_add_co_u32_e32 v5, vcc, s67, v12
	s_cmp_eq_u32 s62, 0
	v_addc_co_u32_e32 v12, vcc, 0, v13, vcc
	s_cselect_b64 vcc, -1, 0
	s_and_b64 s[26:27], exec, s[60:61]
	s_mov_b64 s[62:63], 1
	v_cndmask_b32_e64 v10, v10, v5, s[24:25]
	s_mov_b64 s[60:61], 0
	v_cndmask_b32_e32 v3, v3, v12, vcc
	v_cndmask_b32_e32 v2, v2, v5, vcc
	v_cndmask_b32_e64 v11, v11, v12, s[24:25]
	s_mov_b64 vcc, s[26:27]
	s_waitcnt vmcnt(0)
	buffer_store_dword v7, v4, s[0:3], 0 offen offset:4
	buffer_store_dword v6, v4, s[0:3], 0 offen
	buffer_store_dword v9, v4, s[0:3], 0 offen offset:12
	buffer_store_dword v8, v4, s[0:3], 0 offen offset:8
	v_mov_b32_e32 v4, v35
	s_cbranch_vccnz .LBB4_367
.LBB4_368:                              ;   in Loop: Header=BB4_329 Depth=2
	s_or_b64 exec, exec, s[58:59]
	buffer_load_dword v7, off, s[0:3], s33 offset:176
	buffer_load_dword v6, off, s[0:3], s33 offset:160
	;; [unrolled: 1-line block ×8, first 2 shown]
                                        ; implicit-def: $vgpr20
	s_waitcnt vmcnt(7)
	v_lshlrev_b32_e32 v8, 16, v7
	s_waitcnt vmcnt(6)
	v_lshlrev_b32_e32 v12, 16, v6
	v_pk_add_f32 v[12:13], v[8:9], v[12:13] op_sel_hi:[0,1]
	v_and_b32_e32 v8, 0x7f800000, v12
	v_cmp_ne_u32_e32 vcc, s70, v8
	s_and_saveexec_b64 s[24:25], vcc
	s_xor_b64 s[24:25], exec, s[24:25]
; %bb.369:                              ;   in Loop: Header=BB4_329 Depth=2
	v_bfe_u32 v8, v12, 16, 1
	v_add3_u32 v20, v12, v8, s71
                                        ; implicit-def: $vgpr12_vgpr13
; %bb.370:                              ;   in Loop: Header=BB4_329 Depth=2
	s_andn2_saveexec_b64 s[24:25], s[24:25]
; %bb.371:                              ;   in Loop: Header=BB4_329 Depth=2
	v_or_b32_e32 v8, 0x10000, v12
	v_cmp_eq_u32_sdwa vcc, v12, v60 src0_sel:WORD_0 src1_sel:DWORD
	v_cndmask_b32_e32 v20, v8, v12, vcc
; %bb.372:                              ;   in Loop: Header=BB4_329 Depth=2
	s_or_b64 exec, exec, s[24:25]
	v_and_b32_e32 v8, 0xffff0000, v7
	v_and_b32_e32 v6, 0xffff0000, v6
	v_pk_add_f32 v[12:13], v[8:9], v[6:7] op_sel_hi:[0,1]
	v_and_b32_e32 v6, 0x7f800000, v12
	v_cmp_ne_u32_e32 vcc, s70, v6
                                        ; implicit-def: $vgpr23
	s_and_saveexec_b64 s[24:25], vcc
	s_xor_b64 s[24:25], exec, s[24:25]
; %bb.373:                              ;   in Loop: Header=BB4_329 Depth=2
	v_bfe_u32 v6, v12, 16, 1
	v_add3_u32 v23, v12, v6, s71
                                        ; implicit-def: $vgpr12_vgpr13
; %bb.374:                              ;   in Loop: Header=BB4_329 Depth=2
	s_andn2_saveexec_b64 s[24:25], s[24:25]
; %bb.375:                              ;   in Loop: Header=BB4_329 Depth=2
	v_or_b32_e32 v6, 0x10000, v12
	v_cmp_eq_u32_sdwa vcc, v12, v60 src0_sel:WORD_0 src1_sel:DWORD
	v_cndmask_b32_e32 v23, v6, v12, vcc
; %bb.376:                              ;   in Loop: Header=BB4_329 Depth=2
	s_or_b64 exec, exec, s[24:25]
	s_waitcnt vmcnt(2)
	v_lshlrev_b32_e32 v6, 16, v26
	v_lshlrev_b32_e32 v8, 16, v5
	v_pk_add_f32 v[12:13], v[6:7], v[8:9] op_sel_hi:[0,1]
	v_and_b32_e32 v6, 0x7f800000, v12
	v_cmp_ne_u32_e32 vcc, s70, v6
                                        ; implicit-def: $vgpr24
	s_and_saveexec_b64 s[24:25], vcc
	s_xor_b64 s[24:25], exec, s[24:25]
; %bb.377:                              ;   in Loop: Header=BB4_329 Depth=2
	v_bfe_u32 v6, v12, 16, 1
	v_add3_u32 v24, v12, v6, s71
                                        ; implicit-def: $vgpr12_vgpr13
; %bb.378:                              ;   in Loop: Header=BB4_329 Depth=2
	s_andn2_saveexec_b64 s[24:25], s[24:25]
; %bb.379:                              ;   in Loop: Header=BB4_329 Depth=2
	v_or_b32_e32 v6, 0x10000, v12
	v_cmp_eq_u32_sdwa vcc, v12, v60 src0_sel:WORD_0 src1_sel:DWORD
	v_cndmask_b32_e32 v24, v6, v12, vcc
; %bb.380:                              ;   in Loop: Header=BB4_329 Depth=2
	s_or_b64 exec, exec, s[24:25]
	v_and_b32_e32 v6, 0xffff0000, v26
	v_and_b32_e32 v8, 0xffff0000, v5
	v_pk_add_f32 v[12:13], v[6:7], v[8:9] op_sel_hi:[0,1]
	v_and_b32_e32 v5, 0x7f800000, v12
	v_cmp_ne_u32_e32 vcc, s70, v5
                                        ; implicit-def: $vgpr26
	s_and_saveexec_b64 s[24:25], vcc
	s_xor_b64 s[24:25], exec, s[24:25]
; %bb.381:                              ;   in Loop: Header=BB4_329 Depth=2
	v_bfe_u32 v5, v12, 16, 1
	v_add3_u32 v26, v12, v5, s71
                                        ; implicit-def: $vgpr12_vgpr13
; %bb.382:                              ;   in Loop: Header=BB4_329 Depth=2
	s_andn2_saveexec_b64 s[24:25], s[24:25]
; %bb.383:                              ;   in Loop: Header=BB4_329 Depth=2
	v_or_b32_e32 v5, 0x10000, v12
	v_cmp_eq_u32_sdwa vcc, v12, v60 src0_sel:WORD_0 src1_sel:DWORD
	v_cndmask_b32_e32 v26, v5, v12, vcc
; %bb.384:                              ;   in Loop: Header=BB4_329 Depth=2
	s_or_b64 exec, exec, s[24:25]
	s_waitcnt vmcnt(1)
	v_lshlrev_b32_e32 v6, 16, v4
	v_lshlrev_b32_e32 v8, 16, v25
	v_pk_add_f32 v[12:13], v[6:7], v[8:9] op_sel_hi:[0,1]
	v_and_b32_e32 v5, 0x7f800000, v12
	v_cmp_ne_u32_e32 vcc, s70, v5
                                        ; implicit-def: $vgpr5
	s_and_saveexec_b64 s[24:25], vcc
	s_xor_b64 s[24:25], exec, s[24:25]
; %bb.385:                              ;   in Loop: Header=BB4_329 Depth=2
	v_bfe_u32 v5, v12, 16, 1
	v_add3_u32 v5, v12, v5, s71
                                        ; implicit-def: $vgpr12_vgpr13
; %bb.386:                              ;   in Loop: Header=BB4_329 Depth=2
	s_andn2_saveexec_b64 s[24:25], s[24:25]
; %bb.387:                              ;   in Loop: Header=BB4_329 Depth=2
	v_or_b32_e32 v5, 0x10000, v12
	v_cmp_eq_u32_sdwa vcc, v12, v60 src0_sel:WORD_0 src1_sel:DWORD
	v_cndmask_b32_e32 v5, v5, v12, vcc
; %bb.388:                              ;   in Loop: Header=BB4_329 Depth=2
	s_or_b64 exec, exec, s[24:25]
	v_and_b32_e32 v4, 0xffff0000, v4
	v_and_b32_e32 v6, 0xffff0000, v25
	v_pk_add_f32 v[12:13], v[4:5], v[6:7] op_sel_hi:[0,1]
	v_and_b32_e32 v4, 0x7f800000, v12
	v_cmp_ne_u32_e32 vcc, s70, v4
                                        ; implicit-def: $vgpr4
	s_and_saveexec_b64 s[24:25], vcc
	s_xor_b64 s[24:25], exec, s[24:25]
; %bb.389:                              ;   in Loop: Header=BB4_329 Depth=2
	v_bfe_u32 v4, v12, 16, 1
	v_add3_u32 v4, v12, v4, s71
                                        ; implicit-def: $vgpr12_vgpr13
; %bb.390:                              ;   in Loop: Header=BB4_329 Depth=2
	s_andn2_saveexec_b64 s[24:25], s[24:25]
; %bb.391:                              ;   in Loop: Header=BB4_329 Depth=2
	v_or_b32_e32 v4, 0x10000, v12
	v_cmp_eq_u32_sdwa vcc, v12, v60 src0_sel:WORD_0 src1_sel:DWORD
	v_cndmask_b32_e32 v4, v4, v12, vcc
; %bb.392:                              ;   in Loop: Header=BB4_329 Depth=2
	s_or_b64 exec, exec, s[24:25]
	s_waitcnt vmcnt(0)
	v_lshlrev_b32_e32 v6, 16, v22
	v_lshlrev_b32_e32 v8, 16, v21
	v_pk_add_f32 v[12:13], v[6:7], v[8:9] op_sel_hi:[0,1]
	v_and_b32_e32 v6, 0x7f800000, v12
	v_cmp_ne_u32_e32 vcc, s70, v6
                                        ; implicit-def: $vgpr6
	s_and_saveexec_b64 s[24:25], vcc
	s_xor_b64 s[24:25], exec, s[24:25]
; %bb.393:                              ;   in Loop: Header=BB4_329 Depth=2
	v_bfe_u32 v6, v12, 16, 1
	v_add3_u32 v6, v12, v6, s71
                                        ; implicit-def: $vgpr12_vgpr13
; %bb.394:                              ;   in Loop: Header=BB4_329 Depth=2
	s_andn2_saveexec_b64 s[24:25], s[24:25]
; %bb.395:                              ;   in Loop: Header=BB4_329 Depth=2
	v_or_b32_e32 v6, 0x10000, v12
	v_cmp_eq_u32_sdwa vcc, v12, v60 src0_sel:WORD_0 src1_sel:DWORD
	v_cndmask_b32_e32 v6, v6, v12, vcc
; %bb.396:                              ;   in Loop: Header=BB4_329 Depth=2
	s_or_b64 exec, exec, s[24:25]
	v_and_b32_e32 v8, 0xffff0000, v22
	v_and_b32_e32 v12, 0xffff0000, v21
	v_pk_add_f32 v[12:13], v[8:9], v[12:13] op_sel_hi:[0,1]
	v_and_b32_e32 v7, 0x7f800000, v12
	v_cmp_ne_u32_e32 vcc, s70, v7
                                        ; implicit-def: $vgpr7
	s_and_saveexec_b64 s[24:25], vcc
	s_xor_b64 s[24:25], exec, s[24:25]
; %bb.397:                              ;   in Loop: Header=BB4_329 Depth=2
	v_bfe_u32 v7, v12, 16, 1
	v_add3_u32 v7, v12, v7, s71
                                        ; implicit-def: $vgpr12_vgpr13
; %bb.398:                              ;   in Loop: Header=BB4_329 Depth=2
	s_andn2_saveexec_b64 s[24:25], s[24:25]
; %bb.399:                              ;   in Loop: Header=BB4_329 Depth=2
	v_or_b32_e32 v7, 0x10000, v12
	v_cmp_eq_u32_sdwa vcc, v12, v60 src0_sel:WORD_0 src1_sel:DWORD
	v_cndmask_b32_e32 v7, v7, v12, vcc
; %bb.400:                              ;   in Loop: Header=BB4_329 Depth=2
	s_or_b64 exec, exec, s[24:25]
	v_lshrrev_b32_e32 v8, 16, v24
	v_lshrrev_b32_e32 v5, 16, v5
	v_and_or_b32 v21, v26, s72, v8
	v_lshrrev_b32_e32 v8, 16, v20
	v_and_or_b32 v22, v4, s72, v5
	;; [unrolled: 2-line block ×3, first 2 shown]
	v_and_or_b32 v23, v7, s72, v4
	buffer_store_dword v21, off, s[0:3], s33 offset:164
	buffer_store_dword v20, off, s[0:3], s33 offset:160
	buffer_store_dword v23, off, s[0:3], s33 offset:172
	buffer_store_dword v22, off, s[0:3], s33 offset:168
	global_store_dwordx4 v[0:1], v[20:23], off glc slc
	v_add_co_u32_e32 v0, vcc, 0x400, v0
	v_sub_u32_e32 v18, v18, v28
	v_addc_co_u32_e32 v1, vcc, 0, v1, vcc
	s_and_saveexec_b64 s[24:25], s[56:57]
	s_cbranch_execz .LBB4_328
; %bb.401:                              ;   in Loop: Header=BB4_329 Depth=2
	v_add_co_u32_e32 v2, vcc, v2, v38
	v_addc_co_u32_e32 v3, vcc, v3, v37, vcc
	v_add_co_u32_e32 v10, vcc, v10, v38
	v_addc_co_u32_e32 v11, vcc, v11, v37, vcc
	;; [unrolled: 2-line block ×3, first 2 shown]
	v_sub_u32_e32 v19, v19, v36
	v_sub_u32_e32 v18, v18, v28
	s_branch .LBB4_328
.LBB4_402:                              ;   in Loop: Header=BB4_49 Depth=1
	s_or_b64 exec, exec, s[52:53]
	s_and_b64 s[26:27], s[54:55], exec
.LBB4_403:                              ;   in Loop: Header=BB4_49 Depth=1
	s_or_b64 exec, exec, s[50:51]
	s_and_saveexec_b64 s[24:25], s[26:27]
	s_cbranch_execz .LBB4_437
; %bb.404:                              ;   in Loop: Header=BB4_49 Depth=1
	buffer_load_dword v7, off, s[0:3], s33 offset:208
	buffer_load_dword v6, off, s[0:3], s33 offset:192
	;; [unrolled: 1-line block ×8, first 2 shown]
                                        ; implicit-def: $vgpr10
	s_waitcnt vmcnt(0)
	v_lshlrev_b32_e32 v2, 16, v7
	v_lshlrev_b32_e32 v8, 16, v6
	v_pk_add_f32 v[2:3], v[2:3], v[8:9] op_sel_hi:[0,1]
	v_and_b32_e32 v3, 0x7f800000, v2
	v_cmp_ne_u32_e32 vcc, s70, v3
	s_and_saveexec_b64 s[26:27], vcc
	s_xor_b64 s[26:27], exec, s[26:27]
; %bb.405:                              ;   in Loop: Header=BB4_49 Depth=1
	v_bfe_u32 v3, v2, 16, 1
	v_add3_u32 v10, v2, v3, s71
                                        ; implicit-def: $vgpr2_vgpr3
; %bb.406:                              ;   in Loop: Header=BB4_49 Depth=1
	s_andn2_saveexec_b64 s[26:27], s[26:27]
; %bb.407:                              ;   in Loop: Header=BB4_49 Depth=1
	v_or_b32_e32 v3, 0x10000, v2
	v_cmp_eq_u32_sdwa vcc, v2, v60 src0_sel:WORD_0 src1_sel:DWORD
	v_cndmask_b32_e32 v10, v3, v2, vcc
; %bb.408:                              ;   in Loop: Header=BB4_49 Depth=1
	s_or_b64 exec, exec, s[26:27]
	v_and_b32_e32 v2, 0xffff0000, v7
	v_and_b32_e32 v6, 0xffff0000, v6
	v_pk_add_f32 v[2:3], v[2:3], v[6:7] op_sel_hi:[0,1]
	v_and_b32_e32 v3, 0x7f800000, v2
	v_cmp_ne_u32_e32 vcc, s70, v3
                                        ; implicit-def: $vgpr13
	s_and_saveexec_b64 s[26:27], vcc
	s_xor_b64 s[26:27], exec, s[26:27]
; %bb.409:                              ;   in Loop: Header=BB4_49 Depth=1
	v_bfe_u32 v3, v2, 16, 1
	v_add3_u32 v13, v2, v3, s71
                                        ; implicit-def: $vgpr2_vgpr3
; %bb.410:                              ;   in Loop: Header=BB4_49 Depth=1
	s_andn2_saveexec_b64 s[26:27], s[26:27]
; %bb.411:                              ;   in Loop: Header=BB4_49 Depth=1
	v_or_b32_e32 v3, 0x10000, v2
	v_cmp_eq_u32_sdwa vcc, v2, v60 src0_sel:WORD_0 src1_sel:DWORD
	v_cndmask_b32_e32 v13, v3, v2, vcc
; %bb.412:                              ;   in Loop: Header=BB4_49 Depth=1
	s_or_b64 exec, exec, s[26:27]
	v_lshlrev_b32_e32 v2, 16, v21
	v_lshlrev_b32_e32 v6, 16, v5
	v_pk_add_f32 v[2:3], v[2:3], v[6:7] op_sel_hi:[0,1]
	v_and_b32_e32 v3, 0x7f800000, v2
	v_cmp_ne_u32_e32 vcc, s70, v3
                                        ; implicit-def: $vgpr19
	s_and_saveexec_b64 s[26:27], vcc
	s_xor_b64 s[26:27], exec, s[26:27]
; %bb.413:                              ;   in Loop: Header=BB4_49 Depth=1
	v_bfe_u32 v3, v2, 16, 1
	v_add3_u32 v19, v2, v3, s71
                                        ; implicit-def: $vgpr2_vgpr3
; %bb.414:                              ;   in Loop: Header=BB4_49 Depth=1
	s_andn2_saveexec_b64 s[26:27], s[26:27]
; %bb.415:                              ;   in Loop: Header=BB4_49 Depth=1
	v_or_b32_e32 v3, 0x10000, v2
	v_cmp_eq_u32_sdwa vcc, v2, v60 src0_sel:WORD_0 src1_sel:DWORD
	v_cndmask_b32_e32 v19, v3, v2, vcc
; %bb.416:                              ;   in Loop: Header=BB4_49 Depth=1
	s_or_b64 exec, exec, s[26:27]
	v_and_b32_e32 v2, 0xffff0000, v21
	v_and_b32_e32 v6, 0xffff0000, v5
	v_pk_add_f32 v[2:3], v[2:3], v[6:7] op_sel_hi:[0,1]
	v_and_b32_e32 v3, 0x7f800000, v2
	v_cmp_ne_u32_e32 vcc, s70, v3
                                        ; implicit-def: $vgpr21
	s_and_saveexec_b64 s[26:27], vcc
	s_xor_b64 s[26:27], exec, s[26:27]
; %bb.417:                              ;   in Loop: Header=BB4_49 Depth=1
	v_bfe_u32 v3, v2, 16, 1
	v_add3_u32 v21, v2, v3, s71
                                        ; implicit-def: $vgpr2_vgpr3
; %bb.418:                              ;   in Loop: Header=BB4_49 Depth=1
	s_andn2_saveexec_b64 s[26:27], s[26:27]
; %bb.419:                              ;   in Loop: Header=BB4_49 Depth=1
	v_or_b32_e32 v3, 0x10000, v2
	v_cmp_eq_u32_sdwa vcc, v2, v60 src0_sel:WORD_0 src1_sel:DWORD
	v_cndmask_b32_e32 v21, v3, v2, vcc
; %bb.420:                              ;   in Loop: Header=BB4_49 Depth=1
	s_or_b64 exec, exec, s[26:27]
	v_lshlrev_b32_e32 v2, 16, v4
	v_lshlrev_b32_e32 v6, 16, v20
	v_pk_add_f32 v[2:3], v[2:3], v[6:7] op_sel_hi:[0,1]
	v_and_b32_e32 v3, 0x7f800000, v2
	v_cmp_ne_u32_e32 vcc, s70, v3
                                        ; implicit-def: $vgpr5
	s_and_saveexec_b64 s[26:27], vcc
	s_xor_b64 s[26:27], exec, s[26:27]
; %bb.421:                              ;   in Loop: Header=BB4_49 Depth=1
	v_bfe_u32 v3, v2, 16, 1
	v_add3_u32 v5, v2, v3, s71
                                        ; implicit-def: $vgpr2_vgpr3
; %bb.422:                              ;   in Loop: Header=BB4_49 Depth=1
	s_andn2_saveexec_b64 s[26:27], s[26:27]
; %bb.423:                              ;   in Loop: Header=BB4_49 Depth=1
	v_or_b32_e32 v3, 0x10000, v2
	v_cmp_eq_u32_sdwa vcc, v2, v60 src0_sel:WORD_0 src1_sel:DWORD
	v_cndmask_b32_e32 v5, v3, v2, vcc
; %bb.424:                              ;   in Loop: Header=BB4_49 Depth=1
	s_or_b64 exec, exec, s[26:27]
	v_and_b32_e32 v2, 0xffff0000, v4
	v_and_b32_e32 v4, 0xffff0000, v20
	v_pk_add_f32 v[2:3], v[2:3], v[4:5] op_sel_hi:[0,1]
	v_and_b32_e32 v3, 0x7f800000, v2
	v_cmp_ne_u32_e32 vcc, s70, v3
                                        ; implicit-def: $vgpr4
	s_and_saveexec_b64 s[26:27], vcc
	s_xor_b64 s[26:27], exec, s[26:27]
; %bb.425:                              ;   in Loop: Header=BB4_49 Depth=1
	v_bfe_u32 v3, v2, 16, 1
	v_add3_u32 v4, v2, v3, s71
                                        ; implicit-def: $vgpr2_vgpr3
; %bb.426:                              ;   in Loop: Header=BB4_49 Depth=1
	s_andn2_saveexec_b64 s[26:27], s[26:27]
; %bb.427:                              ;   in Loop: Header=BB4_49 Depth=1
	v_or_b32_e32 v3, 0x10000, v2
	v_cmp_eq_u32_sdwa vcc, v2, v60 src0_sel:WORD_0 src1_sel:DWORD
	v_cndmask_b32_e32 v4, v3, v2, vcc
; %bb.428:                              ;   in Loop: Header=BB4_49 Depth=1
	s_or_b64 exec, exec, s[26:27]
	v_lshlrev_b32_e32 v2, 16, v12
	v_lshlrev_b32_e32 v6, 16, v11
	v_pk_add_f32 v[2:3], v[2:3], v[6:7] op_sel_hi:[0,1]
	v_and_b32_e32 v3, 0x7f800000, v2
	v_cmp_ne_u32_e32 vcc, s70, v3
                                        ; implicit-def: $vgpr6
	s_and_saveexec_b64 s[26:27], vcc
	s_xor_b64 s[26:27], exec, s[26:27]
; %bb.429:                              ;   in Loop: Header=BB4_49 Depth=1
	v_bfe_u32 v3, v2, 16, 1
	v_add3_u32 v6, v2, v3, s71
                                        ; implicit-def: $vgpr2_vgpr3
; %bb.430:                              ;   in Loop: Header=BB4_49 Depth=1
	s_andn2_saveexec_b64 s[26:27], s[26:27]
; %bb.431:                              ;   in Loop: Header=BB4_49 Depth=1
	v_or_b32_e32 v3, 0x10000, v2
	v_cmp_eq_u32_sdwa vcc, v2, v60 src0_sel:WORD_0 src1_sel:DWORD
	v_cndmask_b32_e32 v6, v3, v2, vcc
; %bb.432:                              ;   in Loop: Header=BB4_49 Depth=1
	s_or_b64 exec, exec, s[26:27]
	v_and_b32_e32 v2, 0xffff0000, v12
	v_and_b32_e32 v8, 0xffff0000, v11
	v_pk_add_f32 v[2:3], v[2:3], v[8:9] op_sel_hi:[0,1]
	v_and_b32_e32 v3, 0x7f800000, v2
	v_cmp_ne_u32_e32 vcc, s70, v3
                                        ; implicit-def: $vgpr7
	s_and_saveexec_b64 s[26:27], vcc
	s_xor_b64 s[26:27], exec, s[26:27]
; %bb.433:                              ;   in Loop: Header=BB4_49 Depth=1
	v_bfe_u32 v3, v2, 16, 1
	v_add3_u32 v7, v2, v3, s71
                                        ; implicit-def: $vgpr2_vgpr3
; %bb.434:                              ;   in Loop: Header=BB4_49 Depth=1
	s_andn2_saveexec_b64 s[26:27], s[26:27]
; %bb.435:                              ;   in Loop: Header=BB4_49 Depth=1
	v_or_b32_e32 v3, 0x10000, v2
	v_cmp_eq_u32_sdwa vcc, v2, v60 src0_sel:WORD_0 src1_sel:DWORD
	v_cndmask_b32_e32 v7, v3, v2, vcc
; %bb.436:                              ;   in Loop: Header=BB4_49 Depth=1
	s_or_b64 exec, exec, s[26:27]
	v_lshrrev_b32_e32 v2, 16, v19
	v_lshrrev_b32_e32 v5, 16, v5
	v_and_or_b32 v3, v21, s72, v2
	v_lshrrev_b32_e32 v2, 16, v10
	v_and_or_b32 v4, v4, s72, v5
	;; [unrolled: 2-line block ×3, first 2 shown]
	v_and_or_b32 v5, v7, s72, v5
	global_store_dwordx4 v[0:1], v[2:5], off glc slc
.LBB4_437:                              ;   in Loop: Header=BB4_49 Depth=1
	s_or_b64 exec, exec, s[24:25]
	v_and_b32_e32 v1, 14, v45
	v_cndmask_b32_e64 v45, v17, v1, s[22:23]
	v_cmp_ne_u32_e32 vcc, 0, v45
	s_mov_b64 s[24:25], 0
	v_mov_b32_e32 v19, 0
                                        ; implicit-def: $vgpr20
                                        ; implicit-def: $vgpr0
                                        ; implicit-def: $agpr52_agpr53
	s_and_saveexec_b64 s[26:27], vcc
	s_cbranch_execz .LBB4_439
; %bb.438:                              ;   in Loop: Header=BB4_49 Depth=1
	v_sub_u32_e32 v0, v17, v1
	v_cndmask_b32_e64 v0, 0, v0, s[22:23]
	v_cmp_lt_i32_e32 vcc, 0, v18
	v_add3_u32 v19, v16, v14, v0
	v_cndmask_b32_e32 v0, 0, v28, vcc
	v_sub_u32_e32 v0, v0, v18
	v_lshl_add_u32 v1, v0, 6, v15
	v_ashrrev_i32_e32 v0, 31, v1
	v_lshrrev_b32_e32 v0, 26, v0
	s_trap 2
	ds_read_b64 a[52:53], v0
	v_add_u32_e32 v2, v1, v0
	v_ashrrev_i32_e32 v0, 6, v2
	v_and_b32_e32 v2, 0xffffffc0, v2
	s_mov_b64 s[24:25], exec
	v_sub_u32_e32 v20, v1, v2
.LBB4_439:                              ;   in Loop: Header=BB4_49 Depth=1
	s_or_b64 exec, exec, s[26:27]
	s_and_b64 s[22:23], s[24:25], exec
.LBB4_440:                              ;   in Loop: Header=BB4_49 Depth=1
	s_or_b64 exec, exec, s[48:49]
	s_waitcnt lgkmcnt(0)
	v_accvgpr_read_b32 v4, a52
	v_accvgpr_read_b32 v23, a49
	;; [unrolled: 1-line block ×3, first 2 shown]
	s_and_saveexec_b64 s[26:27], s[22:23]
	s_cbranch_execz .LBB4_501
.LBB4_441:                              ;   in Loop: Header=BB4_49 Depth=1
	v_lshlrev_b32_e32 v1, 8, v0
	v_lshlrev_b32_e32 v2, 1, v20
	v_add3_u32 v10, v19, v2, v1
	v_ashrrev_i32_e32 v1, 31, v45
	v_add_u32_sdwa v1, v45, v1 dst_sel:DWORD dst_unused:UNUSED_PAD src0_sel:DWORD src1_sel:BYTE_3
	v_ashrrev_i32_e32 v14, 8, v1
	v_ashrrev_i32_e32 v11, 31, v10
	v_sub_u32_e32 v12, v14, v0
	s_waitcnt lgkmcnt(0)
	v_add_co_u32_e32 v0, vcc, v4, v10
	v_addc_co_u32_e32 v1, vcc, v5, v11, vcc
	v_pk_mov_b32 v[24:25], v[4:5], v[4:5] op_sel:[0,1]
	v_cmp_lt_i32_e32 vcc, 0, v12
	s_mov_b64 s[24:25], 0
	v_mov_b32_e32 v4, 0
	v_mov_b32_e32 v2, 0
	;; [unrolled: 1-line block ×4, first 2 shown]
	s_and_saveexec_b64 s[22:23], vcc
	s_cbranch_execz .LBB4_465
; %bb.442:                              ;   in Loop: Header=BB4_49 Depth=1
	s_trap 2
	ds_read_b128 v[2:5], v0
	s_mov_b64 s[50:51], 0
	s_mov_b64 s[48:49], 0
                                        ; implicit-def: $sgpr24_sgpr25
                                        ; implicit-def: $vgpr18
                                        ; implicit-def: $vgpr17
                                        ; implicit-def: $vgpr15
                                        ; implicit-def: $vgpr16
	s_waitcnt lgkmcnt(0)
	v_add_co_u32_e32 v2, vcc, v2, v10
	v_addc_co_u32_e32 v3, vcc, v3, v11, vcc
	v_add_co_u32_e32 v10, vcc, v4, v10
	v_addc_co_u32_e32 v11, vcc, v5, v11, vcc
	s_branch .LBB4_444
.LBB4_443:                              ;   in Loop: Header=BB4_444 Depth=2
	s_or_b64 exec, exec, s[52:53]
	flat_store_short_d16_hi v[0:1], v4 glc slc
	flat_store_short_d16_hi v[0:1], v6 offset:128 glc slc
	v_add_co_u32_e32 v4, vcc, v2, v50
	v_addc_co_u32_e32 v6, vcc, v3, v49, vcc
	v_add_co_u32_e32 v7, vcc, v10, v50
	v_addc_co_u32_e32 v8, vcc, v11, v49, vcc
	v_cndmask_b32_e64 v12, v53, v51, s[50:51]
	v_cndmask_b32_e64 v9, 0, v52, s[50:51]
	v_add_co_u32_e32 v0, vcc, v0, v12
	v_cndmask_b32_e64 v2, v2, v4, s[50:51]
	v_cndmask_b32_e64 v4, 0, v28, s[50:51]
	v_addc_co_u32_e32 v1, vcc, v1, v9, vcc
	v_sub_u32_e32 v12, v5, v4
	v_cmp_gt_i32_e32 vcc, 1, v12
	s_or_b64 s[48:49], vcc, s[48:49]
	s_andn2_b64 s[24:25], s[24:25], exec
	s_and_b64 vcc, s[50:51], exec
	v_cndmask_b32_e64 v3, v3, v6, s[50:51]
	v_cndmask_b32_e64 v11, v11, v8, s[50:51]
	;; [unrolled: 1-line block ×3, first 2 shown]
	s_or_b64 s[24:25], s[24:25], vcc
	s_andn2_b64 exec, exec, s[48:49]
	s_cbranch_execz .LBB4_464
.LBB4_444:                              ;   Parent Loop BB4_49 Depth=1
                                        ; =>  This Inner Loop Header: Depth=2
	flat_load_ushort v4, v[2:3] glc slc
	flat_load_ushort v21, v[2:3] offset:128 glc slc
	flat_load_ushort v13, v[10:11] glc slc
	flat_load_ushort v22, v[10:11] offset:128 glc slc
	s_and_saveexec_b64 s[52:53], s[50:51]
	s_cbranch_execz .LBB4_454
; %bb.445:                              ;   in Loop: Header=BB4_444 Depth=2
	v_lshlrev_b32_e32 v5, 16, v18
	v_lshlrev_b32_e32 v6, 16, v15
	v_add_f32_e32 v6, v5, v6
	v_and_b32_e32 v5, 0x7f800000, v6
	v_cmp_ne_u32_e32 vcc, s70, v5
                                        ; implicit-def: $vgpr5
	s_and_saveexec_b64 s[50:51], vcc
	s_xor_b64 vcc, exec, s[50:51]
; %bb.446:                              ;   in Loop: Header=BB4_444 Depth=2
	v_bfe_u32 v5, v6, 16, 1
	v_add3_u32 v5, v6, v5, s71
                                        ; implicit-def: $vgpr6
; %bb.447:                              ;   in Loop: Header=BB4_444 Depth=2
	s_andn2_saveexec_b64 s[50:51], vcc
; %bb.448:                              ;   in Loop: Header=BB4_444 Depth=2
	v_or_b32_e32 v5, 0x10000, v6
	v_cmp_eq_u32_sdwa vcc, v6, v60 src0_sel:WORD_0 src1_sel:DWORD
	v_cndmask_b32_e32 v5, v5, v6, vcc
; %bb.449:                              ;   in Loop: Header=BB4_444 Depth=2
	s_or_b64 exec, exec, s[50:51]
	v_lshlrev_b32_e32 v6, 16, v17
	v_lshlrev_b32_e32 v7, 16, v16
	v_add_f32_e32 v6, v6, v7
	v_and_b32_e32 v7, 0x7f800000, v6
	v_cmp_ne_u32_e32 vcc, s70, v7
                                        ; implicit-def: $vgpr7
	s_and_saveexec_b64 s[50:51], vcc
	s_xor_b64 vcc, exec, s[50:51]
; %bb.450:                              ;   in Loop: Header=BB4_444 Depth=2
	v_bfe_u32 v7, v6, 16, 1
	v_add3_u32 v7, v6, v7, s71
                                        ; implicit-def: $vgpr6
; %bb.451:                              ;   in Loop: Header=BB4_444 Depth=2
	s_andn2_saveexec_b64 s[50:51], vcc
; %bb.452:                              ;   in Loop: Header=BB4_444 Depth=2
	v_or_b32_e32 v7, 0x10000, v6
	v_cmp_eq_u32_sdwa vcc, v6, v60 src0_sel:WORD_0 src1_sel:DWORD
	v_cndmask_b32_e32 v7, v7, v6, vcc
; %bb.453:                              ;   in Loop: Header=BB4_444 Depth=2
	s_or_b64 exec, exec, s[50:51]
	v_lshrrev_b32_e32 v18, 16, v5
	v_lshrrev_b32_e32 v17, 16, v7
	flat_store_short v[0:1], v18 glc slc
	flat_store_short v[0:1], v17 offset:128 glc slc
	v_add_co_u32_e32 v0, vcc, v0, v51
	v_addc_co_u32_e32 v1, vcc, v1, v52, vcc
.LBB4_454:                              ;   in Loop: Header=BB4_444 Depth=2
	s_or_b64 exec, exec, s[52:53]
	v_add_co_u32_e32 v2, vcc, v2, v51
	v_addc_co_u32_e32 v3, vcc, v3, v52, vcc
	v_add_co_u32_e32 v10, vcc, v10, v51
	v_sub_u32_e32 v5, v12, v28
	v_addc_co_u32_e32 v11, vcc, v11, v52, vcc
	v_cmp_lt_i32_e64 s[50:51], 0, v5
	s_and_saveexec_b64 s[52:53], s[50:51]
	s_cbranch_execz .LBB4_456
; %bb.455:                              ;   in Loop: Header=BB4_444 Depth=2
	flat_load_ushort v18, v[2:3] glc slc
	flat_load_ushort v17, v[2:3] offset:128 glc slc
	flat_load_ushort v15, v[10:11] glc slc
	flat_load_ushort v16, v[10:11] offset:128 glc slc
	v_add_co_u32_e32 v2, vcc, 0x100, v2
	v_addc_co_u32_e32 v3, vcc, 0, v3, vcc
	v_add_co_u32_e32 v10, vcc, 0x100, v10
	v_addc_co_u32_e32 v11, vcc, 0, v11, vcc
.LBB4_456:                              ;   in Loop: Header=BB4_444 Depth=2
	s_or_b64 exec, exec, s[52:53]
	s_waitcnt vmcnt(0) lgkmcnt(0)
	v_lshlrev_b32_e32 v6, 16, v13
	v_lshlrev_b32_e32 v4, 16, v4
	v_pk_add_f32 v[12:13], v[6:7], v[4:5] op_sel_hi:[0,1]
	v_and_b32_e32 v4, 0x7f800000, v12
	v_cmp_ne_u32_e32 vcc, s70, v4
                                        ; implicit-def: $vgpr4
	s_and_saveexec_b64 s[52:53], vcc
	s_xor_b64 vcc, exec, s[52:53]
; %bb.457:                              ;   in Loop: Header=BB4_444 Depth=2
	v_bfe_u32 v4, v12, 16, 1
	v_add3_u32 v4, v12, v4, s71
                                        ; implicit-def: $vgpr12_vgpr13
; %bb.458:                              ;   in Loop: Header=BB4_444 Depth=2
	s_andn2_saveexec_b64 s[52:53], vcc
; %bb.459:                              ;   in Loop: Header=BB4_444 Depth=2
	v_or_b32_e32 v4, 0x10000, v12
	v_cmp_eq_u32_sdwa vcc, v12, v60 src0_sel:WORD_0 src1_sel:DWORD
	v_cndmask_b32_e32 v4, v4, v12, vcc
; %bb.460:                              ;   in Loop: Header=BB4_444 Depth=2
	s_or_b64 exec, exec, s[52:53]
	v_lshlrev_b32_e32 v6, 16, v22
	v_lshlrev_b32_e32 v8, 16, v21
	v_pk_add_f32 v[12:13], v[6:7], v[8:9] op_sel_hi:[0,1]
	v_and_b32_e32 v6, 0x7f800000, v12
	v_cmp_ne_u32_e32 vcc, s70, v6
                                        ; implicit-def: $vgpr6
	s_and_saveexec_b64 s[52:53], vcc
	s_xor_b64 vcc, exec, s[52:53]
; %bb.461:                              ;   in Loop: Header=BB4_444 Depth=2
	v_bfe_u32 v6, v12, 16, 1
	v_add3_u32 v6, v12, v6, s71
                                        ; implicit-def: $vgpr12_vgpr13
; %bb.462:                              ;   in Loop: Header=BB4_444 Depth=2
	s_andn2_saveexec_b64 s[52:53], vcc
	s_cbranch_execz .LBB4_443
; %bb.463:                              ;   in Loop: Header=BB4_444 Depth=2
	v_or_b32_e32 v6, 0x10000, v12
	v_cmp_eq_u32_sdwa vcc, v12, v60 src0_sel:WORD_0 src1_sel:DWORD
	v_cndmask_b32_e32 v6, v6, v12, vcc
	s_branch .LBB4_443
.LBB4_464:                              ;   in Loop: Header=BB4_49 Depth=1
	s_or_b64 exec, exec, s[48:49]
	v_lshlrev_b32_e32 v4, 16, v18
	v_lshlrev_b32_e32 v5, 16, v15
	;; [unrolled: 1-line block ×4, first 2 shown]
	s_and_b64 s[24:25], s[24:25], exec
.LBB4_465:                              ;   in Loop: Header=BB4_49 Depth=1
	s_or_b64 exec, exec, s[22:23]
	s_and_saveexec_b64 s[22:23], s[24:25]
	s_cbranch_execz .LBB4_475
; %bb.466:                              ;   in Loop: Header=BB4_49 Depth=1
	v_add_f32_e32 v5, v5, v4
	v_and_b32_e32 v4, 0x7f800000, v5
	v_cmp_ne_u32_e32 vcc, s70, v4
                                        ; implicit-def: $vgpr4
	s_and_saveexec_b64 s[24:25], vcc
	s_xor_b64 s[24:25], exec, s[24:25]
; %bb.467:                              ;   in Loop: Header=BB4_49 Depth=1
	v_bfe_u32 v4, v5, 16, 1
	v_add3_u32 v4, v5, v4, s71
                                        ; implicit-def: $vgpr5
; %bb.468:                              ;   in Loop: Header=BB4_49 Depth=1
	s_andn2_saveexec_b64 s[24:25], s[24:25]
; %bb.469:                              ;   in Loop: Header=BB4_49 Depth=1
	v_or_b32_e32 v4, 0x10000, v5
	v_cmp_eq_u32_sdwa vcc, v5, v60 src0_sel:WORD_0 src1_sel:DWORD
	v_cndmask_b32_e32 v4, v4, v5, vcc
; %bb.470:                              ;   in Loop: Header=BB4_49 Depth=1
	s_or_b64 exec, exec, s[24:25]
	v_add_f32_e32 v2, v3, v2
	v_and_b32_e32 v3, 0x7f800000, v2
	v_cmp_ne_u32_e32 vcc, s70, v3
                                        ; implicit-def: $vgpr3
	s_and_saveexec_b64 s[24:25], vcc
	s_xor_b64 s[24:25], exec, s[24:25]
; %bb.471:                              ;   in Loop: Header=BB4_49 Depth=1
	v_bfe_u32 v3, v2, 16, 1
	v_add3_u32 v3, v2, v3, s71
                                        ; implicit-def: $vgpr2
; %bb.472:                              ;   in Loop: Header=BB4_49 Depth=1
	s_andn2_saveexec_b64 s[24:25], s[24:25]
; %bb.473:                              ;   in Loop: Header=BB4_49 Depth=1
	v_or_b32_e32 v3, 0x10000, v2
	v_cmp_eq_u32_sdwa vcc, v2, v60 src0_sel:WORD_0 src1_sel:DWORD
	v_cndmask_b32_e32 v3, v3, v2, vcc
; %bb.474:                              ;   in Loop: Header=BB4_49 Depth=1
	s_or_b64 exec, exec, s[24:25]
	flat_store_short_d16_hi v[0:1], v4 glc slc
	flat_store_short_d16_hi v[0:1], v3 offset:128 glc slc
.LBB4_475:                              ;   in Loop: Header=BB4_49 Depth=1
	s_or_b64 exec, exec, s[22:23]
	v_lshlrev_b32_e32 v0, 8, v14
	v_cmp_ne_u32_e32 vcc, v45, v0
	s_and_b64 exec, exec, vcc
	s_cbranch_execz .LBB4_501
; %bb.476:                              ;   in Loop: Header=BB4_49 Depth=1
	v_lshlrev_b32_e32 v1, 6, v12
	v_sub_u32_e32 v1, v20, v1
	v_ashrrev_i32_e32 v2, 31, v1
	v_lshrrev_b32_e32 v2, 26, v2
	v_add_u32_e32 v2, v1, v2
	v_and_b32_e32 v3, 0x7fffffc0, v2
	v_sub_u32_e32 v1, v1, v3
	v_lshlrev_b32_e32 v2, 1, v2
	v_and_b32_e32 v2, 0xffffff80, v2
	v_lshlrev_b32_e32 v1, 1, v1
	v_add3_u32 v0, v2, v1, v0
	v_add_u32_e32 v2, v0, v19
	v_ashrrev_i32_e32 v1, 31, v2
	v_add_co_u32_e32 v12, vcc, v2, v24
	v_sub_u32_e32 v4, v45, v0
	v_addc_co_u32_e32 v13, vcc, v1, v25, vcc
	v_cmp_lt_i32_e32 vcc, 1, v4
	s_mov_b64 s[22:23], 0
	s_and_saveexec_b64 s[48:49], vcc
	s_cbranch_execz .LBB4_495
; %bb.477:                              ;   in Loop: Header=BB4_49 Depth=1
	s_trap 2
	ds_read_b128 v[6:9], v0
	s_mov_b64 s[54:55], 0
	s_mov_b64 s[50:51], 0
	v_accvgpr_read_b32 v10, a43
	v_accvgpr_read_b32 v16, a44
	s_waitcnt lgkmcnt(0)
	v_add_co_u32_e32 v0, vcc, v6, v2
	v_addc_co_u32_e32 v11, vcc, v7, v1, vcc
	v_add_co_u32_e32 v2, vcc, v8, v2
	v_addc_co_u32_e32 v3, vcc, v9, v1, vcc
	v_accvgpr_read_b32 v17, a45
	v_accvgpr_read_b32 v18, a46
	;; [unrolled: 1-line block ×3, first 2 shown]
                                        ; implicit-def: $sgpr52_sgpr53
	s_branch .LBB4_479
.LBB4_478:                              ;   in Loop: Header=BB4_479 Depth=2
	s_or_b64 exec, exec, s[22:23]
	v_lshrrev_b32_e32 v4, 16, v4
	buffer_store_short v4, off, s[0:3], s33 offset:160
	flat_store_short v[12:13], v4 glc slc
	v_add_co_u32_e32 v4, vcc, v0, v16
	v_addc_co_u32_e32 v5, vcc, v11, v17, vcc
	v_add_co_u32_e32 v6, vcc, v2, v16
	v_addc_co_u32_e32 v7, vcc, v3, v17, vcc
	v_cndmask_b32_e64 v9, v40, v18, s[54:55]
	v_cndmask_b32_e64 v8, 0, v19, s[54:55]
	v_add_co_u32_e32 v12, vcc, v12, v9
	v_cndmask_b32_e64 v0, v0, v4, s[54:55]
	v_cndmask_b32_e64 v4, 0, v10, s[54:55]
	v_addc_co_u32_e32 v13, vcc, v13, v8, vcc
	v_sub_u32_e32 v4, v1, v4
	v_cmp_gt_i32_e32 vcc, 2, v4
	s_or_b64 s[50:51], vcc, s[50:51]
	s_andn2_b64 s[22:23], s[52:53], exec
	s_and_b64 s[24:25], s[54:55], exec
	v_cndmask_b32_e64 v3, v3, v7, s[54:55]
	v_cndmask_b32_e64 v2, v2, v6, s[54:55]
	;; [unrolled: 1-line block ×3, first 2 shown]
	s_or_b64 s[52:53], s[22:23], s[24:25]
	s_andn2_b64 exec, exec, s[50:51]
	s_cbranch_execz .LBB4_494
.LBB4_479:                              ;   Parent Loop BB4_49 Depth=1
                                        ; =>  This Loop Header: Depth=2
                                        ;       Child Loop BB4_480 Depth 3
                                        ;       Child Loop BB4_489 Depth 3
	v_lshrrev_b32_e64 v1, 6, s33
	v_add_u32_e32 v1, 0xa0, v1
	s_mov_b64 s[56:57], -1
	s_mov_b64 s[58:59], 0
.LBB4_480:                              ;   Parent Loop BB4_49 Depth=1
                                        ;     Parent Loop BB4_479 Depth=2
                                        ; =>    This Inner Loop Header: Depth=3
	s_cmp_eq_u32 s58, 1
	s_cselect_b64 s[22:23], -1, 0
	v_cndmask_b32_e64 v7, v11, v3, s[22:23]
	v_cndmask_b32_e64 v6, v0, v2, s[22:23]
	flat_load_ushort v5, v[6:7] glc slc
	v_add_co_u32_e32 v6, vcc, 0x80, v6
	s_cmp_eq_u32 s58, 0
	v_addc_co_u32_e32 v7, vcc, 0, v7, vcc
	s_cselect_b64 vcc, -1, 0
	s_and_b64 s[24:25], exec, s[56:57]
	s_mov_b64 s[58:59], 1
	v_cndmask_b32_e64 v2, v2, v6, s[22:23]
	s_mov_b64 s[56:57], 0
	v_cndmask_b32_e64 v3, v3, v7, s[22:23]
	v_cndmask_b32_e32 v11, v11, v7, vcc
	v_cndmask_b32_e32 v0, v0, v6, vcc
	s_mov_b64 vcc, s[24:25]
	s_waitcnt vmcnt(0) lgkmcnt(0)
	buffer_store_short v5, v1, s[0:3], 0 offen
	v_lshrrev_b32_e64 v1, 6, s33
	v_add_u32_e32 v1, 0xc0, v1
	s_cbranch_vccnz .LBB4_480
; %bb.481:                              ;   in Loop: Header=BB4_479 Depth=2
	s_and_saveexec_b64 s[22:23], s[54:55]
	s_cbranch_execz .LBB4_487
; %bb.482:                              ;   in Loop: Header=BB4_479 Depth=2
	buffer_load_ushort v1, off, s[0:3], s33 offset:154
	buffer_load_ushort v5, off, s[0:3], s33 offset:152
	s_waitcnt vmcnt(1)
	v_lshlrev_b32_e32 v6, 16, v1
	s_waitcnt vmcnt(0)
	v_lshlrev_b32_e32 v8, 16, v5
	v_pk_add_f32 v[14:15], v[6:7], v[8:9] op_sel_hi:[0,1]
	v_and_b32_e32 v1, 0x7f800000, v14
	v_cmp_ne_u32_e32 vcc, s70, v1
                                        ; implicit-def: $vgpr1
	s_and_saveexec_b64 s[24:25], vcc
	s_xor_b64 s[24:25], exec, s[24:25]
; %bb.483:                              ;   in Loop: Header=BB4_479 Depth=2
	v_bfe_u32 v1, v14, 16, 1
	v_add3_u32 v1, v14, v1, s71
                                        ; implicit-def: $vgpr14_vgpr15
; %bb.484:                              ;   in Loop: Header=BB4_479 Depth=2
	s_andn2_saveexec_b64 s[24:25], s[24:25]
; %bb.485:                              ;   in Loop: Header=BB4_479 Depth=2
	v_or_b32_e32 v1, 0x10000, v14
	v_cmp_eq_u32_sdwa vcc, v14, v60 src0_sel:WORD_0 src1_sel:DWORD
	v_cndmask_b32_e32 v1, v1, v14, vcc
; %bb.486:                              ;   in Loop: Header=BB4_479 Depth=2
	s_or_b64 exec, exec, s[24:25]
	v_lshrrev_b32_e32 v1, 16, v1
	flat_store_short v[12:13], v1 glc slc
	v_add_co_u32_e32 v12, vcc, v12, v18
	v_addc_co_u32_e32 v13, vcc, v13, v19, vcc
	buffer_store_short v1, off, s[0:3], s33 offset:152
.LBB4_487:                              ;   in Loop: Header=BB4_479 Depth=2
	s_or_b64 exec, exec, s[22:23]
	v_add_co_u32_e32 v0, vcc, v0, v16
	v_addc_co_u32_e32 v11, vcc, v11, v17, vcc
	v_add_co_u32_e32 v2, vcc, v2, v16
	v_sub_u32_e32 v1, v4, v10
	v_addc_co_u32_e32 v3, vcc, v3, v17, vcc
	v_cmp_lt_i32_e64 s[54:55], 1, v1
	s_and_saveexec_b64 s[56:57], s[54:55]
	s_cbranch_execz .LBB4_490
; %bb.488:                              ;   in Loop: Header=BB4_479 Depth=2
	v_lshrrev_b32_e64 v4, 6, s33
	v_add_u32_e32 v4, 0x98, v4
	s_mov_b64 s[60:61], 0
	s_mov_b64 s[58:59], -1
.LBB4_489:                              ;   Parent Loop BB4_49 Depth=1
                                        ;     Parent Loop BB4_479 Depth=2
                                        ; =>    This Inner Loop Header: Depth=3
	s_cmp_eq_u32 s60, 1
	s_cselect_b64 s[22:23], -1, 0
	v_cndmask_b32_e64 v7, v11, v3, s[22:23]
	v_cndmask_b32_e64 v6, v0, v2, s[22:23]
	flat_load_ushort v5, v[6:7] glc slc
	v_add_co_u32_e32 v6, vcc, 0x80, v6
	s_cmp_eq_u32 s60, 0
	v_addc_co_u32_e32 v7, vcc, 0, v7, vcc
	s_cselect_b64 vcc, -1, 0
	s_and_b64 s[24:25], exec, s[58:59]
	s_mov_b64 s[60:61], 1
	v_cndmask_b32_e64 v2, v2, v6, s[22:23]
	s_mov_b64 s[58:59], 0
	v_cndmask_b32_e32 v11, v11, v7, vcc
	v_cndmask_b32_e32 v0, v0, v6, vcc
	v_cndmask_b32_e64 v3, v3, v7, s[22:23]
	s_mov_b64 vcc, s[24:25]
	s_waitcnt vmcnt(0) lgkmcnt(0)
	buffer_store_short v5, v4, s[0:3], 0 offen
	v_lshrrev_b32_e64 v4, 6, s33
	v_add_u32_e32 v4, 0x9a, v4
	s_cbranch_vccnz .LBB4_489
.LBB4_490:                              ;   in Loop: Header=BB4_479 Depth=2
	s_or_b64 exec, exec, s[56:57]
	buffer_load_ushort v4, off, s[0:3], s33 offset:192
	buffer_load_ushort v5, off, s[0:3], s33 offset:160
	s_waitcnt vmcnt(0)
	v_lshlrev_b32_e32 v4, 16, v4
	v_lshlrev_b32_e32 v6, 16, v5
	v_pk_add_f32 v[14:15], v[4:5], v[6:7] op_sel_hi:[0,1]
	v_and_b32_e32 v4, 0x7f800000, v14
	v_cmp_ne_u32_e32 vcc, s70, v4
                                        ; implicit-def: $vgpr4
	s_and_saveexec_b64 s[22:23], vcc
	s_xor_b64 s[22:23], exec, s[22:23]
; %bb.491:                              ;   in Loop: Header=BB4_479 Depth=2
	v_bfe_u32 v4, v14, 16, 1
	v_add3_u32 v4, v14, v4, s71
                                        ; implicit-def: $vgpr14_vgpr15
; %bb.492:                              ;   in Loop: Header=BB4_479 Depth=2
	s_andn2_saveexec_b64 s[22:23], s[22:23]
	s_cbranch_execz .LBB4_478
; %bb.493:                              ;   in Loop: Header=BB4_479 Depth=2
	v_or_b32_e32 v4, 0x10000, v14
	v_cmp_eq_u32_sdwa vcc, v14, v60 src0_sel:WORD_0 src1_sel:DWORD
	v_cndmask_b32_e32 v4, v4, v14, vcc
	s_branch .LBB4_478
.LBB4_494:                              ;   in Loop: Header=BB4_49 Depth=1
	s_or_b64 exec, exec, s[50:51]
	s_and_b64 s[22:23], s[52:53], exec
.LBB4_495:                              ;   in Loop: Header=BB4_49 Depth=1
	s_or_b64 exec, exec, s[48:49]
	s_and_b64 exec, exec, s[22:23]
	s_cbranch_execz .LBB4_501
; %bb.496:                              ;   in Loop: Header=BB4_49 Depth=1
	buffer_load_ushort v0, off, s[0:3], s33 offset:154
	buffer_load_ushort v1, off, s[0:3], s33 offset:152
	s_waitcnt vmcnt(0)
	v_lshlrev_b32_e32 v0, 16, v0
	v_lshlrev_b32_e32 v2, 16, v1
	v_pk_add_f32 v[0:1], v[0:1], v[2:3] op_sel_hi:[0,1]
	v_and_b32_e32 v1, 0x7f800000, v0
	v_cmp_ne_u32_e32 vcc, s70, v1
                                        ; implicit-def: $vgpr2
	s_and_saveexec_b64 s[22:23], vcc
	s_xor_b64 s[22:23], exec, s[22:23]
; %bb.497:                              ;   in Loop: Header=BB4_49 Depth=1
	v_bfe_u32 v1, v0, 16, 1
	v_add3_u32 v2, v0, v1, s71
                                        ; implicit-def: $vgpr0_vgpr1
; %bb.498:                              ;   in Loop: Header=BB4_49 Depth=1
	s_andn2_saveexec_b64 s[22:23], s[22:23]
; %bb.499:                              ;   in Loop: Header=BB4_49 Depth=1
	v_or_b32_e32 v1, 0x10000, v0
	v_cmp_eq_u32_sdwa vcc, v0, v60 src0_sel:WORD_0 src1_sel:DWORD
	v_cndmask_b32_e32 v2, v1, v0, vcc
; %bb.500:                              ;   in Loop: Header=BB4_49 Depth=1
	s_or_b64 exec, exec, s[22:23]
	flat_store_short_d16_hi v[12:13], v2 glc slc
.LBB4_501:                              ;   in Loop: Header=BB4_49 Depth=1
	s_or_b64 exec, exec, s[26:27]
	v_accvgpr_read_b32 v9, a3
	v_accvgpr_read_b32 v19, a13
	v_cmp_ne_u32_e64 s[22:23], 0, v41
	v_accvgpr_read_b32 v8, a2
	v_accvgpr_read_b32 v18, a12
	;; [unrolled: 1-line block ×4, first 2 shown]
.LBB4_502:                              ;   in Loop: Header=BB4_49 Depth=1
	s_and_saveexec_b64 s[24:25], s[12:13]
	s_cbranch_execz .LBB4_521
; %bb.503:                              ;   in Loop: Header=BB4_49 Depth=1
	s_and_saveexec_b64 s[26:27], s[38:39]
	s_xor_b64 s[26:27], exec, s[26:27]
	s_cbranch_execz .LBB4_518
; %bb.504:                              ;   in Loop: Header=BB4_49 Depth=1
	s_and_saveexec_b64 s[48:49], s[14:15]
	s_cbranch_execz .LBB4_517
; %bb.505:                              ;   in Loop: Header=BB4_49 Depth=1
	s_mov_b64 s[52:53], exec
	v_mbcnt_lo_u32_b32 v0, s52, 0
	v_mbcnt_hi_u32_b32 v0, s53, v0
	v_cmp_eq_u32_e32 vcc, 0, v0
	s_waitcnt vmcnt(0) lgkmcnt(0)
	buffer_wbinvl1_vol
	s_and_saveexec_b64 s[50:51], vcc
	s_cbranch_execz .LBB4_507
; %bb.506:                              ;   in Loop: Header=BB4_49 Depth=1
	s_bcnt1_i32_b64 vcc_lo, s[52:53]
	v_mov_b32_e32 v0, vcc_lo
	v_mov_b32_e32 v1, v60
	ds_add_u64 v0, v[0:1]
	s_trap 2
.LBB4_507:                              ;   in Loop: Header=BB4_49 Depth=1
	s_or_b64 exec, exec, s[50:51]
	s_trap 2
	ds_read_b64 v[0:1], v0
	v_accvgpr_read_b32 v2, a18
	v_accvgpr_read_b32 v3, a19
	v_add_co_u32_e32 v2, vcc, v2, v28
	v_addc_co_u32_e32 v3, vcc, 0, v3, vcc
	v_accvgpr_write_b32 a19, v3
	v_accvgpr_write_b32 a18, v2
	s_waitcnt lgkmcnt(0)
	v_cmp_lt_u64_e32 vcc, v[0:1], v[2:3]
	s_and_saveexec_b64 s[50:51], vcc
	s_cbranch_execz .LBB4_516
; %bb.508:                              ;   in Loop: Header=BB4_49 Depth=1
	s_mov_b32 s62, 0
	s_mov_b64 s[52:53], 0
                                        ; implicit-def: $sgpr54_sgpr55
                                        ; implicit-def: $sgpr56_sgpr57
	s_branch .LBB4_510
.LBB4_509:                              ;   in Loop: Header=BB4_510 Depth=2
	s_or_b64 exec, exec, s[60:61]
	s_and_b64 vcc, exec, vcc
	s_or_b64 s[52:53], vcc, s[52:53]
	s_andn2_b64 vcc, s[54:55], exec
	s_and_b64 s[54:55], s[56:57], exec
	s_or_b64 s[54:55], vcc, s[54:55]
	s_andn2_b64 exec, exec, s[52:53]
	s_cbranch_execz .LBB4_514
.LBB4_510:                              ;   Parent Loop BB4_49 Depth=1
                                        ; =>  This Inner Loop Header: Depth=2
	s_add_i32 s62, s62, 1
	s_cmpk_lg_i32 s62, 0x2710
	s_cselect_b64 s[58:59], -1, 0
	s_and_b64 vcc, exec, s[58:59]
                                        ; implicit-def: $sgpr60_sgpr61
	s_cbranch_vccnz .LBB4_512
; %bb.511:                              ;   in Loop: Header=BB4_510 Depth=2
	s_trap 2
	ds_read_b64 v[0:1], v0
	s_andn2_b64 s[58:59], s[58:59], exec
	s_mov_b32 s62, 0
	s_mov_b64 s[60:61], -1
	s_waitcnt lgkmcnt(0)
	flat_load_dword v0, v[0:1] glc
	s_waitcnt vmcnt(0) lgkmcnt(0)
	buffer_invl2
	buffer_wbinvl1_vol
	v_cmp_eq_u32_e32 vcc, 0, v0
	s_and_b64 vcc, vcc, exec
	s_or_b64 s[58:59], s[58:59], vcc
.LBB4_512:                              ;   in Loop: Header=BB4_510 Depth=2
	s_andn2_b64 s[56:57], s[56:57], exec
	s_and_b64 s[60:61], s[60:61], exec
	s_mov_b64 vcc, -1
	s_or_b64 s[56:57], s[56:57], s[60:61]
	s_and_saveexec_b64 s[60:61], s[58:59]
	s_cbranch_execz .LBB4_509
; %bb.513:                              ;   in Loop: Header=BB4_510 Depth=2
	s_sleep 1
	s_trap 2
	ds_read_b64 v[0:1], v0
	v_accvgpr_read_b32 v2, a18
	v_accvgpr_read_b32 v3, a19
	s_andn2_b64 s[56:57], s[56:57], exec
	s_waitcnt lgkmcnt(0)
	v_cmp_ge_u64_e32 vcc, v[0:1], v[2:3]
	s_orn2_b64 vcc, vcc, exec
	s_branch .LBB4_509
.LBB4_514:                              ;   in Loop: Header=BB4_49 Depth=1
	s_or_b64 exec, exec, s[52:53]
	s_and_saveexec_b64 vcc, s[54:55]
	s_xor_b64 vcc, exec, vcc
	s_cbranch_execz .LBB4_516
; %bb.515:                              ;   in Loop: Header=BB4_49 Depth=1
	ds_write_b32 v0, v55
	s_trap 2
.LBB4_516:                              ;   in Loop: Header=BB4_49 Depth=1
	s_or_b64 exec, exec, s[50:51]
	;;#ASMSTART
	s_wakeup
	;;#ASMEND
.LBB4_517:                              ;   in Loop: Header=BB4_49 Depth=1
	s_or_b64 exec, exec, s[48:49]
.LBB4_518:                              ;   in Loop: Header=BB4_49 Depth=1
	s_andn2_saveexec_b64 s[26:27], s[26:27]
	s_cbranch_execz .LBB4_520
; %bb.519:                              ;   in Loop: Header=BB4_49 Depth=1
	s_waitcnt vmcnt(0) lgkmcnt(0)
	buffer_wbinvl1_vol
	s_barrier
.LBB4_520:                              ;   in Loop: Header=BB4_49 Depth=1
	s_or_b64 exec, exec, s[26:27]
.LBB4_521:                              ;   in Loop: Header=BB4_49 Depth=1
	s_or_b64 exec, exec, s[24:25]
	v_and_b32_e32 v0, 16, v62
	v_cmp_ne_u32_e32 vcc, 0, v0
	s_and_b64 s[24:25], vcc, s[22:23]
	s_and_saveexec_b64 s[22:23], s[24:25]
	s_cbranch_execz .LBB4_523
; %bb.522:                              ;   in Loop: Header=BB4_49 Depth=1
	s_waitcnt vmcnt(0) lgkmcnt(0)
	buffer_wbinvl1_vol
.LBB4_523:                              ;   in Loop: Header=BB4_49 Depth=1
	s_or_b64 exec, exec, s[22:23]
	v_cmp_ne_u32_e32 vcc, 0, v0
	s_xor_b64 s[22:23], s[20:21], -1
	s_and_b64 s[24:25], vcc, s[22:23]
	s_and_saveexec_b64 s[22:23], s[24:25]
	s_cbranch_execz .LBB4_525
; %bb.524:                              ;   in Loop: Header=BB4_49 Depth=1
	v_accvgpr_read_b32 v0, a22
	v_accvgpr_read_b32 v1, a23
	flat_store_dword v[0:1], v55
.LBB4_525:                              ;   in Loop: Header=BB4_49 Depth=1
	s_or_b64 exec, exec, s[22:23]
	v_and_b32_e32 v0, 48, v62
	v_cmp_ne_u32_e32 vcc, 0, v0
	s_and_saveexec_b64 s[22:23], vcc
	s_cbranch_execz .LBB4_527
; %bb.526:                              ;   in Loop: Header=BB4_49 Depth=1
	v_add_co_u32_e32 v18, vcc, 1, v18
	v_addc_co_u32_e32 v19, vcc, 0, v19, vcc
	flat_store_dwordx2 v[42:43], v[18:19]
.LBB4_527:                              ;   in Loop: Header=BB4_49 Depth=1
	s_or_b64 exec, exec, s[22:23]
	v_mov_b32_e32 v1, v23
.LBB4_528:                              ;   in Loop: Header=BB4_49 Depth=1
	s_or_b64 exec, exec, s[46:47]
	s_and_saveexec_b64 s[24:25], s[44:45]
	s_cbranch_execz .LBB4_48
; %bb.529:                              ;   in Loop: Header=BB4_49 Depth=1
	v_and_b32_e32 v0, 12, v62
	v_cmp_ne_u32_e32 vcc, 0, v0
	s_mov_b64 s[26:27], -1
	s_and_saveexec_b64 s[22:23], vcc
	s_cbranch_execz .LBB4_541
; %bb.530:                              ;   in Loop: Header=BB4_49 Depth=1
	v_and_b32_e32 v0, 8, v62
	s_waitcnt lgkmcnt(0)
	v_add_co_u32_e32 v4, vcc, v46, v0
	v_addc_co_u32_e32 v5, vcc, 0, v47, vcc
	v_add_co_u32_e32 v2, vcc, 1, v18
	v_addc_co_u32_e32 v3, vcc, 0, v19, vcc
	v_cmp_lt_u64_e32 vcc, v[4:5], v[2:3]
	v_mov_b32_e32 v4, 1
	s_and_saveexec_b64 s[26:27], vcc
	s_cbranch_execz .LBB4_540
; %bb.531:                              ;   in Loop: Header=BB4_49 Depth=1
	s_mov_b64 s[44:45], 0
	v_mov_b32_e32 v4, 0
                                        ; implicit-def: $sgpr46_sgpr47
	s_branch .LBB4_535
.LBB4_532:                              ;   in Loop: Header=BB4_535 Depth=2
	s_or_b64 exec, exec, s[54:55]
	v_mov_b32_e32 v5, 0
	s_orn2_b64 s[52:53], s[52:53], exec
.LBB4_533:                              ;   in Loop: Header=BB4_535 Depth=2
	s_or_b64 exec, exec, s[50:51]
	s_andn2_b64 vcc, s[46:47], exec
	s_and_b64 s[46:47], s[52:53], exec
	s_or_b64 s[46:47], vcc, s[46:47]
	v_mov_b32_e32 v4, v5
.LBB4_534:                              ;   in Loop: Header=BB4_535 Depth=2
	s_or_b64 exec, exec, s[48:49]
	s_waitcnt vmcnt(0) lgkmcnt(0)
	v_add_co_u32_e32 v6, vcc, v46, v0
	v_addc_co_u32_e32 v7, vcc, 0, v47, vcc
	v_cmp_ge_u64_e32 vcc, v[6:7], v[2:3]
	s_xor_b64 s[48:49], s[46:47], -1
	s_or_b64 vcc, s[48:49], vcc
	s_and_b64 vcc, exec, vcc
	s_or_b64 s[44:45], vcc, s[44:45]
	s_andn2_b64 exec, exec, s[44:45]
	s_cbranch_execz .LBB4_539
.LBB4_535:                              ;   Parent Loop BB4_49 Depth=1
                                        ; =>  This Inner Loop Header: Depth=2
	s_sleep 1
	flat_load_dwordx2 v[46:47], v[42:43] glc
	v_and_b32_e32 v5, 64, v62
	v_cmp_eq_u32_e32 vcc, 0, v5
	s_andn2_b64 s[46:47], s[46:47], exec
	s_and_saveexec_b64 s[48:49], vcc
	s_cbranch_execz .LBB4_534
; %bb.536:                              ;   in Loop: Header=BB4_535 Depth=2
	v_add_u32_e32 v5, 1, v4
	v_cmp_lt_i32_e32 vcc, s68, v4
	s_mov_b64 s[52:53], -1
	s_and_saveexec_b64 s[50:51], vcc
	s_cbranch_execz .LBB4_533
; %bb.537:                              ;   in Loop: Header=BB4_535 Depth=2
	s_trap 2
	ds_read_b64 v[4:5], v0
	s_waitcnt vmcnt(0) lgkmcnt(0)
	flat_load_dword v4, v[4:5] glc
	s_waitcnt vmcnt(0) lgkmcnt(0)
	buffer_invl2
	buffer_wbinvl1_vol
	v_cmp_ne_u32_e32 vcc, 0, v4
	s_and_saveexec_b64 s[54:55], vcc
	s_cbranch_execz .LBB4_532
; %bb.538:                              ;   in Loop: Header=BB4_535 Depth=2
	v_or_b32_e32 v62, 64, v62
	s_xor_b64 s[52:53], exec, -1
	ds_write_b32 v0, v4
	s_trap 2
	s_branch .LBB4_532
.LBB4_539:                              ;   in Loop: Header=BB4_49 Depth=1
	s_or_b64 exec, exec, s[44:45]
	v_and_b32_e32 v4, 12, v62
.LBB4_540:                              ;   in Loop: Header=BB4_49 Depth=1
	s_or_b64 exec, exec, s[26:27]
	v_cmp_eq_u32_e32 vcc, 0, v4
	s_orn2_b64 s[26:27], vcc, exec
	;;#ASMSTART
	s_wakeup
	;;#ASMEND
.LBB4_541:                              ;   in Loop: Header=BB4_49 Depth=1
	s_or_b64 exec, exec, s[22:23]
	v_sub_u32_e32 v0, v44, v1
	s_xor_b64 s[22:23], s[26:27], -1
	v_min_i32_e32 v0, v23, v0
	s_and_saveexec_b64 s[26:27], s[22:23]
	s_cbranch_execz .LBB4_555
; %bb.542:                              ;   in Loop: Header=BB4_49 Depth=1
	v_and_b32_e32 v1, 0x108, v62
	v_cmp_ne_u32_e32 vcc, s69, v1
	v_and_b32_e32 v2, 7, v18
	s_and_saveexec_b64 s[22:23], vcc
	s_xor_b64 s[22:23], exec, s[22:23]
                                        ; implicit-def: $vgpr10_vgpr11
; %bb.543:                              ;   in Loop: Header=BB4_49 Depth=1
	v_mov_b32_e32 v11, v60
; %bb.544:                              ;   in Loop: Header=BB4_49 Depth=1
	s_andn2_saveexec_b64 s[22:23], s[22:23]
	s_cbranch_execz .LBB4_546
; %bb.545:                              ;   in Loop: Header=BB4_49 Depth=1
	v_ashrrev_i32_e32 v1, 31, v0
	v_mov_b32_e32 v11, v60
	s_waitcnt lgkmcnt(0)
	v_mad_u64_u32 v[4:5], vcc, v2, 24, v[16:17]
	v_lshlrev_b64 v[6:7], 1, v[0:1]
	flat_store_dwordx2 v[4:5], v[6:7] offset:8
.LBB4_546:                              ;   in Loop: Header=BB4_49 Depth=1
	s_or_b64 exec, exec, s[22:23]
	v_and_b32_e32 v1, 0x100, v62
	v_cmp_ne_u32_e32 vcc, 0, v1
	s_mov_b64 s[22:23], -1
                                        ; implicit-def: $vgpr12_vgpr13
	s_and_saveexec_b64 s[44:45], vcc
	s_cbranch_execz .LBB4_550
; %bb.547:                              ;   in Loop: Header=BB4_49 Depth=1
	v_mad_u64_u32 v[14:15], s[22:23], v2, 24, v[16:17]
	s_waitcnt lgkmcnt(0)
	v_mov_b32_e32 v4, v15
	v_mad_u64_u32 v[4:5], s[22:23], v11, 24, v[4:5]
	v_mov_b32_e32 v15, v4
	flat_load_dword v1, v[14:15]
                                        ; implicit-def: $vgpr12_vgpr13
	s_waitcnt vmcnt(0) lgkmcnt(0)
	v_cmp_ne_u32_e32 vcc, 1, v1
	v_cmp_eq_u32_e64 s[22:23], 1, v1
	s_and_saveexec_b64 s[46:47], s[22:23]
	s_cbranch_execz .LBB4_549
; %bb.548:                              ;   in Loop: Header=BB4_49 Depth=1
	flat_load_dword v4, v[14:15] offset:4 glc
	s_waitcnt vmcnt(0) lgkmcnt(0)
	v_ashrrev_i32_e32 v5, 31, v4
	v_lshrrev_b64 v[12:13], 1, v[4:5]
.LBB4_549:                              ;   in Loop: Header=BB4_49 Depth=1
	s_or_b64 exec, exec, s[46:47]
	s_orn2_b64 s[22:23], vcc, exec
.LBB4_550:                              ;   in Loop: Header=BB4_49 Depth=1
	s_or_b64 exec, exec, s[44:45]
	s_and_saveexec_b64 vcc, s[22:23]
	s_cbranch_execz .LBB4_552
; %bb.551:                              ;   in Loop: Header=BB4_49 Depth=1
	s_waitcnt lgkmcnt(0)
	v_accvgpr_read_b32 v4, a14
	v_mul_lo_u32 v1, v11, v4
	v_mul_lo_u32 v3, v2, v29
	v_mad_u64_u32 v[12:13], s[22:23], v2, v4, 0
	v_add3_u32 v13, v13, v3, v1
.LBB4_552:                              ;   in Loop: Header=BB4_49 Depth=1
	s_or_b64 exec, exec, vcc
	v_lshlrev_b64 v[2:3], 1, v[12:13]
	s_waitcnt lgkmcnt(0)
	v_accvgpr_read_b32 v4, a16
	v_accvgpr_read_b32 v5, a17
	v_add_co_u32_e32 v2, vcc, v4, v2
	v_addc_co_u32_e32 v3, vcc, v5, v3, vcc
	v_and_b32_e32 v1, 0x2000, v62
	v_cmp_ne_u32_e32 vcc, 0, v1
	s_trap 2
	ds_write_b64 v0, v[2:3]
	s_and_saveexec_b64 s[22:23], vcc
	s_cbranch_execz .LBB4_554
; %bb.553:                              ;   in Loop: Header=BB4_49 Depth=1
	ds_read_b64 v[2:3], v0 offset:584
	s_waitcnt lgkmcnt(0)
	v_add_co_u32_e32 v2, vcc, 1, v2
	v_addc_co_u32_e32 v3, vcc, 0, v3, vcc
	ds_write_b64 v0, v[2:3] offset:584
.LBB4_554:                              ;   in Loop: Header=BB4_49 Depth=1
	s_or_b64 exec, exec, s[22:23]
	v_add_co_u32_e32 v18, vcc, 1, v18
	v_addc_co_u32_e32 v19, vcc, 0, v19, vcc
.LBB4_555:                              ;   in Loop: Header=BB4_49 Depth=1
	s_or_b64 exec, exec, s[26:27]
	s_and_saveexec_b64 s[22:23], s[12:13]
	s_cbranch_execz .LBB4_574
; %bb.556:                              ;   in Loop: Header=BB4_49 Depth=1
	s_and_saveexec_b64 s[26:27], s[38:39]
	s_xor_b64 s[26:27], exec, s[26:27]
	s_cbranch_execz .LBB4_571
; %bb.557:                              ;   in Loop: Header=BB4_49 Depth=1
	s_and_saveexec_b64 s[44:45], s[14:15]
	s_cbranch_execz .LBB4_570
; %bb.558:                              ;   in Loop: Header=BB4_49 Depth=1
	s_mov_b64 s[48:49], exec
	v_mbcnt_lo_u32_b32 v1, s48, 0
	v_mbcnt_hi_u32_b32 v1, s49, v1
	v_cmp_eq_u32_e32 vcc, 0, v1
	s_waitcnt vmcnt(0) lgkmcnt(0)
	buffer_wbinvl1_vol
	s_and_saveexec_b64 s[46:47], vcc
	s_cbranch_execz .LBB4_560
; %bb.559:                              ;   in Loop: Header=BB4_49 Depth=1
	s_bcnt1_i32_b64 vcc_lo, s[48:49]
	v_mov_b32_e32 v2, vcc_lo
	v_mov_b32_e32 v3, v60
	ds_add_u64 v0, v[2:3]
	s_trap 2
.LBB4_560:                              ;   in Loop: Header=BB4_49 Depth=1
	s_or_b64 exec, exec, s[46:47]
	s_trap 2
	ds_read_b64 v[2:3], v0
	v_accvgpr_read_b32 v4, a18
	v_accvgpr_read_b32 v5, a19
	v_add_co_u32_e32 v4, vcc, v4, v28
	v_addc_co_u32_e32 v5, vcc, 0, v5, vcc
	v_accvgpr_write_b32 a19, v5
	v_accvgpr_write_b32 a18, v4
	s_waitcnt lgkmcnt(0)
	v_cmp_lt_u64_e32 vcc, v[2:3], v[4:5]
	s_and_saveexec_b64 s[46:47], vcc
	s_cbranch_execz .LBB4_569
; %bb.561:                              ;   in Loop: Header=BB4_49 Depth=1
	s_mov_b32 s58, 0
	s_mov_b64 s[48:49], 0
                                        ; implicit-def: $sgpr50_sgpr51
                                        ; implicit-def: $sgpr52_sgpr53
	s_branch .LBB4_563
.LBB4_562:                              ;   in Loop: Header=BB4_563 Depth=2
	s_or_b64 exec, exec, s[56:57]
	s_and_b64 vcc, exec, vcc
	s_or_b64 s[48:49], vcc, s[48:49]
	s_andn2_b64 vcc, s[50:51], exec
	s_and_b64 s[50:51], s[52:53], exec
	s_or_b64 s[50:51], vcc, s[50:51]
	s_andn2_b64 exec, exec, s[48:49]
	s_cbranch_execz .LBB4_567
.LBB4_563:                              ;   Parent Loop BB4_49 Depth=1
                                        ; =>  This Inner Loop Header: Depth=2
	s_add_i32 s58, s58, 1
	s_cmpk_lg_i32 s58, 0x2710
	s_cselect_b64 s[54:55], -1, 0
	s_and_b64 vcc, exec, s[54:55]
                                        ; implicit-def: $sgpr56_sgpr57
	s_cbranch_vccnz .LBB4_565
; %bb.564:                              ;   in Loop: Header=BB4_563 Depth=2
	s_trap 2
	ds_read_b64 v[2:3], v0
	s_andn2_b64 s[54:55], s[54:55], exec
	s_mov_b32 s58, 0
	s_mov_b64 s[56:57], -1
	s_waitcnt lgkmcnt(0)
	flat_load_dword v1, v[2:3] glc
	s_waitcnt vmcnt(0) lgkmcnt(0)
	buffer_invl2
	buffer_wbinvl1_vol
	v_cmp_eq_u32_e32 vcc, 0, v1
	s_and_b64 vcc, vcc, exec
	s_or_b64 s[54:55], s[54:55], vcc
.LBB4_565:                              ;   in Loop: Header=BB4_563 Depth=2
	s_andn2_b64 s[52:53], s[52:53], exec
	s_and_b64 s[56:57], s[56:57], exec
	s_mov_b64 vcc, -1
	s_or_b64 s[52:53], s[52:53], s[56:57]
	s_and_saveexec_b64 s[56:57], s[54:55]
	s_cbranch_execz .LBB4_562
; %bb.566:                              ;   in Loop: Header=BB4_563 Depth=2
	s_sleep 1
	s_trap 2
	ds_read_b64 v[2:3], v0
	v_accvgpr_read_b32 v4, a18
	v_accvgpr_read_b32 v5, a19
	s_andn2_b64 s[52:53], s[52:53], exec
	s_waitcnt lgkmcnt(0)
	v_cmp_ge_u64_e32 vcc, v[2:3], v[4:5]
	s_orn2_b64 vcc, vcc, exec
	s_branch .LBB4_562
.LBB4_567:                              ;   in Loop: Header=BB4_49 Depth=1
	s_or_b64 exec, exec, s[48:49]
	s_and_saveexec_b64 vcc, s[50:51]
	s_xor_b64 vcc, exec, vcc
	s_cbranch_execz .LBB4_569
; %bb.568:                              ;   in Loop: Header=BB4_49 Depth=1
	ds_write_b32 v0, v55
	s_trap 2
.LBB4_569:                              ;   in Loop: Header=BB4_49 Depth=1
	s_or_b64 exec, exec, s[46:47]
	;;#ASMSTART
	s_wakeup
	;;#ASMEND
.LBB4_570:                              ;   in Loop: Header=BB4_49 Depth=1
	s_or_b64 exec, exec, s[44:45]
.LBB4_571:                              ;   in Loop: Header=BB4_49 Depth=1
	s_andn2_saveexec_b64 s[26:27], s[26:27]
	s_cbranch_execz .LBB4_573
; %bb.572:                              ;   in Loop: Header=BB4_49 Depth=1
	s_waitcnt vmcnt(0) lgkmcnt(0)
	buffer_wbinvl1_vol
	s_barrier
.LBB4_573:                              ;   in Loop: Header=BB4_49 Depth=1
	s_or_b64 exec, exec, s[26:27]
.LBB4_574:                              ;   in Loop: Header=BB4_49 Depth=1
	s_or_b64 exec, exec, s[22:23]
	s_trap 2
	ds_read_b32 v1, v0
	v_cmp_lt_i32_e32 vcc, 0, v0
	v_and_b32_e32 v0, 16, v62
	s_waitcnt lgkmcnt(0)
	v_readfirstlane_b32 s22, v1
	s_cmp_eq_u32 s22, 0
	s_cselect_b64 s[22:23], -1, 0
	s_and_b64 s[22:23], vcc, s[22:23]
	v_cmp_ne_u32_e32 vcc, 0, v0
	s_and_b64 s[26:27], vcc, s[22:23]
	s_and_saveexec_b64 s[22:23], s[26:27]
	s_cbranch_execz .LBB4_576
; %bb.575:                              ;   in Loop: Header=BB4_49 Depth=1
	s_waitcnt vmcnt(0)
	buffer_wbinvl1_vol
.LBB4_576:                              ;   in Loop: Header=BB4_49 Depth=1
	s_or_b64 exec, exec, s[22:23]
	v_cmp_ne_u32_e32 vcc, 0, v0
	s_xor_b64 s[22:23], s[20:21], -1
	s_and_b64 s[26:27], vcc, s[22:23]
	s_and_saveexec_b64 s[22:23], s[26:27]
	s_cbranch_execz .LBB4_578
; %bb.577:                              ;   in Loop: Header=BB4_49 Depth=1
	v_accvgpr_read_b32 v0, a22
	v_accvgpr_read_b32 v1, a23
	flat_store_dword v[0:1], v55
.LBB4_578:                              ;   in Loop: Header=BB4_49 Depth=1
	s_or_b64 exec, exec, s[22:23]
	v_and_b32_e32 v0, 48, v62
	v_cmp_ne_u32_e32 vcc, 0, v0
	s_and_saveexec_b64 s[22:23], vcc
	s_cbranch_execz .LBB4_47
; %bb.579:                              ;   in Loop: Header=BB4_49 Depth=1
	v_add_co_u32_e32 v18, vcc, 1, v18
	v_addc_co_u32_e32 v19, vcc, 0, v19, vcc
	flat_store_dwordx2 v[42:43], v[18:19]
	s_branch .LBB4_47
.LBB4_580:
	s_or_b64 exec, exec, s[40:41]
	v_accvgpr_read_b32 v56, a0
.LBB4_581:
	s_or_b64 exec, exec, s[36:37]
                                        ; implicit-def: $agpr4_agpr5
                                        ; implicit-def: $vgpr8_vgpr9
                                        ; implicit-def: $agpr14
                                        ; implicit-def: $vgpr46_vgpr47
                                        ; implicit-def: $agpr16_agpr17
                                        ; implicit-def: $vgpr42_vgpr43
                                        ; implicit-def: $vgpr0
                                        ; implicit-def: $vgpr1
                                        ; implicit-def: $agpr20_agpr21
.LBB4_582:
	s_andn2_saveexec_b64 s[24:25], s[34:35]
	s_cbranch_execz .LBB4_1108
; %bb.583:
	v_pk_mov_b32 v[2:3], 0, 0
	v_accvgpr_write_b32 a19, v3
	v_accvgpr_write_b32 a18, v2
	s_and_saveexec_b64 s[26:27], s[6:7]
	s_cbranch_execz .LBB4_1107
; %bb.584:
	v_and_b32_e32 v2, 63, v31
	v_cmp_eq_u32_e64 s[12:13], 0, v2
	v_ashrrev_i32_e32 v2, 31, v0
	v_lshrrev_b32_e32 v2, 26, v2
	v_add_u32_e32 v2, v0, v2
	s_lshr_b32 s6, s64, 27
	v_ashrrev_i32_e32 v29, 6, v2
	v_and_b32_e32 v2, 0xffffffc0, v2
	s_add_i32 s6, s64, s6
	v_sub_u32_e32 v30, v0, v2
	s_ashr_i32 s60, s6, 5
	v_cmp_ge_i32_e64 s[6:7], v0, v56
	v_lshlrev_b32_e32 v0, 4, v30
	v_lshrrev_b32_e32 v28, 6, v56
	v_lshl_add_u32 v32, v29, 11, v0
	v_mov_b32_e32 v0, 0xfffff800
	v_lshl_add_u32 v0, v28, 11, v0
	s_movk_i32 s61, 0x800
	v_cmp_le_i32_e64 s[14:15], v30, v1
	v_ashrrev_i32_e32 v1, 31, v0
	v_accvgpr_write_b32 a26, v0
	v_add_co_u32_e64 v0, s[18:19], s61, v0
	v_accvgpr_write_b32 a28, v0
	v_addc_co_u32_e64 v0, s[18:19], 0, v1, s[18:19]
	v_accvgpr_write_b32 a29, v0
	v_lshrrev_b32_e64 v0, 6, s33
	v_add_u32_e32 v0, 0xc0, v0
	v_lshlrev_b32_e32 v35, 10, v28
	v_add_u32_e32 v34, 16, v0
	v_lshrrev_b32_e64 v0, 6, s33
	v_add_u32_e32 v36, 0xfffffc00, v35
	s_movk_i32 s62, 0x400
	v_add_u32_e32 v0, 0xa0, v0
	v_ashrrev_i32_e32 v37, 31, v36
	v_add_co_u32_e64 v38, s[18:19], s62, v36
	v_cmp_eq_u32_e32 vcc, 64, v56
	v_cmp_ne_u32_e64 s[10:11], 64, v56
	v_cmp_ne_u32_sdwa s[34:35], v27, v56 src0_sel:WORD_0 src1_sel:DWORD
	v_accvgpr_write_b32 a0, v56
	v_add_u32_e32 v56, 16, v0
	v_addc_co_u32_e64 v39, s[18:19], 0, v37, s[18:19]
	v_mov_b32_e32 v0, 0xffffff00
	v_lshl_add_u32 v48, v28, 8, v0
	s_movk_i32 s18, 0x100
	v_ashrrev_i32_e32 v49, 31, v48
	v_add_co_u32_e64 v50, s[18:19], s18, v48
	v_addc_co_u32_e64 v51, s[18:19], 0, v49, s[18:19]
	v_lshlrev_b32_e32 v0, 7, v28
	v_accvgpr_write_b32 a40, v0
	v_add_u32_e32 v0, 0xffffff80, v0
	s_movk_i32 s18, 0x80
	v_accvgpr_write_b32 a27, v1
	v_ashrrev_i32_e32 v1, 31, v0
	v_accvgpr_write_b32 a42, v0
	v_add_co_u32_e64 v0, s[18:19], s18, v0
	v_pk_mov_b32 v[44:45], 0, 0
	v_accvgpr_write_b32 a43, v0
	v_addc_co_u32_e64 v0, s[18:19], 0, v1, s[18:19]
	v_accvgpr_write_b32 a18, v44
	v_accvgpr_read_b32 v2, a20
	v_mov_b32_e32 v53, 0
	v_cmp_gt_i32_e64 s[16:17], 1, v30
	v_ashrrev_i32_e32 v33, 31, v32
	v_accvgpr_write_b32 a41, v1
	v_accvgpr_write_b32 a44, v0
	s_mov_b64 s[36:37], 0
	s_movk_i32 s63, 0x270e
	v_mov_b32_e32 v54, 0x100
	s_xor_b64 s[38:39], vcc, -1
	s_mov_b32 s65, 0x7f800000
	s_movk_i32 s66, 0x7fff
	s_mov_b32 s67, 0xffff0000
	v_mov_b32_e32 v55, 0x80
	v_accvgpr_write_b32 a19, v45
	v_accvgpr_read_b32 v3, a21
	s_trap 2
	s_branch .LBB4_587
.LBB4_585:                              ;   in Loop: Header=BB4_587 Depth=1
	s_or_b64 exec, exec, s[18:19]
.LBB4_586:                              ;   in Loop: Header=BB4_587 Depth=1
	s_or_b64 exec, exec, s[20:21]
	v_accvgpr_read_b32 v2, a20
	v_add_co_u32_e32 v44, vcc, v44, v2
	v_addc_co_u32_e32 v45, vcc, 0, v45, vcc
	v_cmp_ge_u64_e32 vcc, v[44:45], v[8:9]
	v_accvgpr_read_b32 v3, a21
	s_or_b64 s[36:37], vcc, s[36:37]
	s_andn2_b64 exec, exec, s[36:37]
	s_cbranch_execz .LBB4_1106
.LBB4_587:                              ; =>This Loop Header: Depth=1
                                        ;     Child Loop BB4_598 Depth 2
                                        ;     Child Loop BB4_620 Depth 2
	;; [unrolled: 1-line block ×5, first 2 shown]
                                        ;       Child Loop BB4_864 Depth 3
                                        ;       Child Loop BB4_901 Depth 3
                                        ;     Child Loop BB4_978 Depth 2
                                        ;     Child Loop BB4_1013 Depth 2
                                        ;       Child Loop BB4_1014 Depth 3
                                        ;       Child Loop BB4_1023 Depth 3
                                        ;     Child Loop BB4_1044 Depth 2
                                        ;     Child Loop BB4_1069 Depth 2
	;; [unrolled: 1-line block ×3, first 2 shown]
	v_sub_co_u32_e32 v0, vcc, v8, v44
	v_subb_co_u32_e32 v1, vcc, v9, v45, vcc
	v_cmp_lt_u64_e32 vcc, v[2:3], v[0:1]
	v_cndmask_b32_e64 v3, v1, 0, vcc
	v_cndmask_b32_e32 v2, v0, v2, vcc
	v_add_u32_e32 v0, 15, v2
	v_cmp_eq_u64_e32 vcc, 0, v[2:3]
	v_and_b32_e32 v0, 0x3ffffff0, v0
	s_or_b64 s[40:41], s[6:7], vcc
	v_max_i32_e32 v22, s60, v0
	v_accvgpr_write_b32 a46, v2
	s_xor_b64 s[18:19], s[40:41], -1
	v_mov_b32_e32 v10, 0
	s_and_saveexec_b64 s[42:43], s[18:19]
	s_cbranch_execz .LBB4_1060
; %bb.588:                              ;   in Loop: Header=BB4_587 Depth=1
	s_and_saveexec_b64 s[18:19], s[4:5]
	s_cbranch_execz .LBB4_590
; %bb.589:                              ;   in Loop: Header=BB4_587 Depth=1
	s_trap 2
	ds_read2_b64 v[0:3], v0 offset1:1
	s_waitcnt lgkmcnt(0)
	v_accvgpr_read_b32 v4, a4
	v_accvgpr_read_b32 v5, a5
	v_add_co_u32_e32 v4, vcc, v44, v4
	v_addc_co_u32_e32 v5, vcc, v45, v5, vcc
	v_lshlrev_b64 v[4:5], 1, v[4:5]
	ds_read_b64 v[6:7], v0
	v_add_co_u32_e32 v0, vcc, v0, v4
	v_addc_co_u32_e32 v1, vcc, v1, v5, vcc
	ds_write_b64 v0, v[0:1]
	v_add_co_u32_e32 v0, vcc, v2, v4
	v_addc_co_u32_e32 v1, vcc, v3, v5, vcc
	ds_write_b64 v0, v[0:1]
	s_waitcnt lgkmcnt(0)
	v_add_co_u32_e32 v0, vcc, v6, v4
	v_addc_co_u32_e32 v1, vcc, v7, v5, vcc
	v_cmp_ne_u64_e32 vcc, 0, v[6:7]
	v_cndmask_b32_e32 v1, 0, v1, vcc
	v_cndmask_b32_e32 v0, 0, v0, vcc
	ds_write_b64 v0, v[0:1]
.LBB4_590:                              ;   in Loop: Header=BB4_587 Depth=1
	s_or_b64 exec, exec, s[18:19]
	v_and_b32_e32 v0, 4, v62
	v_cmp_ne_u32_e32 vcc, 0, v0
	s_mov_b64 s[20:21], -1
	s_and_saveexec_b64 s[18:19], vcc
	s_cbranch_execnz .LBB4_593
; %bb.591:                              ;   in Loop: Header=BB4_587 Depth=1
	s_or_b64 exec, exec, s[18:19]
	s_xor_b64 s[18:19], s[20:21], -1
	s_and_saveexec_b64 s[20:21], s[18:19]
	s_cbranch_execnz .LBB4_604
.LBB4_592:                              ;   in Loop: Header=BB4_587 Depth=1
	s_or_b64 exec, exec, s[20:21]
	s_and_saveexec_b64 s[18:19], s[10:11]
	s_cbranch_execnz .LBB4_613
	s_branch .LBB4_631
.LBB4_593:                              ;   in Loop: Header=BB4_587 Depth=1
	v_add_co_u32_e32 v0, vcc, 1, v18
	v_addc_co_u32_e32 v1, vcc, 0, v19, vcc
	v_cmp_lt_u64_e32 vcc, v[46:47], v[0:1]
	v_mov_b32_e32 v2, 1
	s_and_saveexec_b64 s[20:21], vcc
	s_cbranch_execz .LBB4_603
; %bb.594:                              ;   in Loop: Header=BB4_587 Depth=1
	s_mov_b64 s[22:23], 0
	v_mov_b32_e32 v2, 0
                                        ; implicit-def: $sgpr44_sgpr45
	s_branch .LBB4_598
.LBB4_595:                              ;   in Loop: Header=BB4_598 Depth=2
	s_or_b64 exec, exec, s[52:53]
	v_mov_b32_e32 v3, 0
	s_orn2_b64 s[50:51], s[50:51], exec
.LBB4_596:                              ;   in Loop: Header=BB4_598 Depth=2
	s_or_b64 exec, exec, s[48:49]
	s_andn2_b64 vcc, s[44:45], exec
	s_and_b64 s[44:45], s[50:51], exec
	s_or_b64 s[44:45], vcc, s[44:45]
	v_mov_b32_e32 v2, v3
.LBB4_597:                              ;   in Loop: Header=BB4_598 Depth=2
	s_or_b64 exec, exec, s[46:47]
	s_waitcnt vmcnt(0) lgkmcnt(0)
	v_cmp_ge_u64_e32 vcc, v[46:47], v[0:1]
	s_xor_b64 s[46:47], s[44:45], -1
	s_or_b64 vcc, s[46:47], vcc
	s_and_b64 vcc, exec, vcc
	s_or_b64 s[22:23], vcc, s[22:23]
	s_andn2_b64 exec, exec, s[22:23]
	s_cbranch_execz .LBB4_602
.LBB4_598:                              ;   Parent Loop BB4_587 Depth=1
                                        ; =>  This Inner Loop Header: Depth=2
	s_sleep 1
	flat_load_dwordx2 v[46:47], v[42:43] glc
	v_and_b32_e32 v3, 64, v62
	v_cmp_eq_u32_e32 vcc, 0, v3
	s_andn2_b64 s[44:45], s[44:45], exec
	s_and_saveexec_b64 s[46:47], vcc
	s_cbranch_execz .LBB4_597
; %bb.599:                              ;   in Loop: Header=BB4_598 Depth=2
	v_add_u32_e32 v3, 1, v2
	v_cmp_lt_i32_e32 vcc, s63, v2
	s_mov_b64 s[50:51], -1
	s_and_saveexec_b64 s[48:49], vcc
	s_cbranch_execz .LBB4_596
; %bb.600:                              ;   in Loop: Header=BB4_598 Depth=2
	s_trap 2
	ds_read_b64 v[2:3], v0
	s_waitcnt vmcnt(0) lgkmcnt(0)
	flat_load_dword v2, v[2:3] glc
	s_waitcnt vmcnt(0) lgkmcnt(0)
	buffer_invl2
	buffer_wbinvl1_vol
	v_cmp_ne_u32_e32 vcc, 0, v2
	s_and_saveexec_b64 s[52:53], vcc
	s_cbranch_execz .LBB4_595
; %bb.601:                              ;   in Loop: Header=BB4_598 Depth=2
	v_or_b32_e32 v62, 64, v62
	s_xor_b64 s[50:51], exec, -1
	ds_write_b32 v0, v2
	s_trap 2
	s_branch .LBB4_595
.LBB4_602:                              ;   in Loop: Header=BB4_587 Depth=1
	s_or_b64 exec, exec, s[22:23]
	v_and_b32_e32 v2, 4, v62
.LBB4_603:                              ;   in Loop: Header=BB4_587 Depth=1
	s_or_b64 exec, exec, s[20:21]
	v_cmp_eq_u32_e32 vcc, 0, v2
	s_orn2_b64 s[20:21], vcc, exec
	;;#ASMSTART
	s_wakeup
	;;#ASMEND
	s_or_b64 exec, exec, s[18:19]
	s_xor_b64 s[18:19], s[20:21], -1
	s_and_saveexec_b64 s[20:21], s[18:19]
	s_cbranch_execz .LBB4_592
.LBB4_604:                              ;   in Loop: Header=BB4_587 Depth=1
	v_and_b32_e32 v0, 0x100, v62
	v_cmp_ne_u32_e32 vcc, 0, v0
	s_waitcnt lgkmcnt(0)
	v_and_b32_e32 v4, 7, v18
	s_mov_b64 s[18:19], -1
                                        ; implicit-def: $vgpr0_vgpr1
	s_and_saveexec_b64 s[22:23], vcc
	s_cbranch_execz .LBB4_608
; %bb.605:                              ;   in Loop: Header=BB4_587 Depth=1
	v_mad_u64_u32 v[2:3], s[18:19], v4, 24, v[16:17]
	flat_load_dword v0, v[2:3]
	s_waitcnt vmcnt(0) lgkmcnt(0)
	v_cmp_ne_u32_e32 vcc, 1, v0
	v_cmp_eq_u32_e64 s[18:19], 1, v0
                                        ; implicit-def: $vgpr0_vgpr1
	s_and_saveexec_b64 s[44:45], s[18:19]
	s_cbranch_execz .LBB4_607
; %bb.606:                              ;   in Loop: Header=BB4_587 Depth=1
	flat_load_dword v0, v[2:3] offset:4 glc
	s_waitcnt vmcnt(0) lgkmcnt(0)
	v_ashrrev_i32_e32 v1, 31, v0
	v_lshrrev_b64 v[0:1], 1, v[0:1]
.LBB4_607:                              ;   in Loop: Header=BB4_587 Depth=1
	s_or_b64 exec, exec, s[44:45]
	s_orn2_b64 s[18:19], vcc, exec
.LBB4_608:                              ;   in Loop: Header=BB4_587 Depth=1
	s_or_b64 exec, exec, s[22:23]
	s_and_saveexec_b64 s[22:23], s[18:19]
; %bb.609:                              ;   in Loop: Header=BB4_587 Depth=1
	v_accvgpr_read_b32 v0, a14
	v_mad_i64_i32 v[0:1], s[18:19], v4, v0, 0
; %bb.610:                              ;   in Loop: Header=BB4_587 Depth=1
	s_or_b64 exec, exec, s[22:23]
	v_lshlrev_b64 v[0:1], 1, v[0:1]
	v_accvgpr_read_b32 v2, a16
	v_accvgpr_read_b32 v3, a17
	v_add_co_u32_e32 v0, vcc, v2, v0
	v_addc_co_u32_e32 v1, vcc, v3, v1, vcc
	ds_write_b64 v0, v[0:1] offset:728
	v_and_b32_e32 v0, 0x2000, v62
	v_cmp_ne_u32_e32 vcc, 0, v0
	s_and_saveexec_b64 s[18:19], vcc
	s_cbranch_execz .LBB4_612
; %bb.611:                              ;   in Loop: Header=BB4_587 Depth=1
	ds_read_b64 v[0:1], v0 offset:584
	s_waitcnt lgkmcnt(0)
	v_add_co_u32_e32 v0, vcc, 1, v0
	v_addc_co_u32_e32 v1, vcc, 0, v1, vcc
	ds_write_b64 v0, v[0:1] offset:584
.LBB4_612:                              ;   in Loop: Header=BB4_587 Depth=1
	s_or_b64 exec, exec, s[18:19]
	v_add_co_u32_e32 v18, vcc, 1, v18
	v_addc_co_u32_e32 v19, vcc, 0, v19, vcc
	s_or_b64 exec, exec, s[20:21]
	s_and_saveexec_b64 s[18:19], s[10:11]
	s_cbranch_execz .LBB4_631
.LBB4_613:                              ;   in Loop: Header=BB4_587 Depth=1
	s_and_saveexec_b64 s[20:21], s[34:35]
	s_xor_b64 s[20:21], exec, s[20:21]
	s_cbranch_execz .LBB4_628
; %bb.614:                              ;   in Loop: Header=BB4_587 Depth=1
	s_and_saveexec_b64 s[22:23], s[12:13]
	s_cbranch_execz .LBB4_627
; %bb.615:                              ;   in Loop: Header=BB4_587 Depth=1
	s_mov_b64 s[46:47], exec
	v_mbcnt_lo_u32_b32 v0, s46, 0
	v_mbcnt_hi_u32_b32 v0, s47, v0
	v_cmp_eq_u32_e32 vcc, 0, v0
	s_waitcnt vmcnt(0) lgkmcnt(0)
	buffer_wbinvl1_vol
	s_and_saveexec_b64 s[44:45], vcc
	s_cbranch_execz .LBB4_617
; %bb.616:                              ;   in Loop: Header=BB4_587 Depth=1
	s_bcnt1_i32_b64 vcc_lo, s[46:47]
	v_mov_b32_e32 v52, vcc_lo
	ds_add_u64 v0, v[52:53]
	s_trap 2
.LBB4_617:                              ;   in Loop: Header=BB4_587 Depth=1
	s_or_b64 exec, exec, s[44:45]
	s_trap 2
	ds_read_b64 v[0:1], v0
	v_accvgpr_read_b32 v2, a18
	v_accvgpr_read_b32 v3, a19
	v_add_co_u32_e32 v2, vcc, v2, v28
	v_addc_co_u32_e32 v3, vcc, 0, v3, vcc
	v_accvgpr_write_b32 a19, v3
	v_accvgpr_write_b32 a18, v2
	s_waitcnt lgkmcnt(0)
	v_cmp_lt_u64_e32 vcc, v[0:1], v[2:3]
	s_and_saveexec_b64 s[44:45], vcc
	s_cbranch_execz .LBB4_626
; %bb.618:                              ;   in Loop: Header=BB4_587 Depth=1
	s_mov_b32 s56, 0
	s_mov_b64 s[46:47], 0
                                        ; implicit-def: $sgpr48_sgpr49
                                        ; implicit-def: $sgpr50_sgpr51
	s_branch .LBB4_620
.LBB4_619:                              ;   in Loop: Header=BB4_620 Depth=2
	s_or_b64 exec, exec, s[54:55]
	s_and_b64 vcc, exec, vcc
	s_or_b64 s[46:47], vcc, s[46:47]
	s_andn2_b64 vcc, s[48:49], exec
	s_and_b64 s[48:49], s[50:51], exec
	s_or_b64 s[48:49], vcc, s[48:49]
	s_andn2_b64 exec, exec, s[46:47]
	s_cbranch_execz .LBB4_624
.LBB4_620:                              ;   Parent Loop BB4_587 Depth=1
                                        ; =>  This Inner Loop Header: Depth=2
	s_add_i32 s56, s56, 1
	s_cmpk_lg_i32 s56, 0x2710
	s_cselect_b64 s[52:53], -1, 0
	s_and_b64 vcc, exec, s[52:53]
                                        ; implicit-def: $sgpr54_sgpr55
	s_cbranch_vccnz .LBB4_622
; %bb.621:                              ;   in Loop: Header=BB4_620 Depth=2
	s_trap 2
	ds_read_b64 v[0:1], v0
	s_andn2_b64 s[52:53], s[52:53], exec
	s_mov_b32 s56, 0
	s_mov_b64 s[54:55], -1
	s_waitcnt lgkmcnt(0)
	flat_load_dword v0, v[0:1] glc
	s_waitcnt vmcnt(0) lgkmcnt(0)
	buffer_invl2
	buffer_wbinvl1_vol
	v_cmp_eq_u32_e32 vcc, 0, v0
	s_and_b64 vcc, vcc, exec
	s_or_b64 s[52:53], s[52:53], vcc
.LBB4_622:                              ;   in Loop: Header=BB4_620 Depth=2
	s_andn2_b64 s[50:51], s[50:51], exec
	s_and_b64 s[54:55], s[54:55], exec
	s_mov_b64 vcc, -1
	s_or_b64 s[50:51], s[50:51], s[54:55]
	s_and_saveexec_b64 s[54:55], s[52:53]
	s_cbranch_execz .LBB4_619
; %bb.623:                              ;   in Loop: Header=BB4_620 Depth=2
	s_sleep 1
	s_trap 2
	ds_read_b64 v[0:1], v0
	v_accvgpr_read_b32 v2, a18
	v_accvgpr_read_b32 v3, a19
	s_andn2_b64 s[50:51], s[50:51], exec
	s_waitcnt lgkmcnt(0)
	v_cmp_ge_u64_e32 vcc, v[0:1], v[2:3]
	s_orn2_b64 vcc, vcc, exec
	s_branch .LBB4_619
.LBB4_624:                              ;   in Loop: Header=BB4_587 Depth=1
	s_or_b64 exec, exec, s[46:47]
	s_and_saveexec_b64 vcc, s[48:49]
	s_xor_b64 vcc, exec, vcc
	s_cbranch_execz .LBB4_626
; %bb.625:                              ;   in Loop: Header=BB4_587 Depth=1
	v_mov_b32_e32 v0, 1
	ds_write_b32 v0, v0
	s_trap 2
.LBB4_626:                              ;   in Loop: Header=BB4_587 Depth=1
	s_or_b64 exec, exec, s[44:45]
	;;#ASMSTART
	s_wakeup
	;;#ASMEND
.LBB4_627:                              ;   in Loop: Header=BB4_587 Depth=1
	s_or_b64 exec, exec, s[22:23]
.LBB4_628:                              ;   in Loop: Header=BB4_587 Depth=1
	s_andn2_saveexec_b64 s[20:21], s[20:21]
	s_cbranch_execz .LBB4_630
; %bb.629:                              ;   in Loop: Header=BB4_587 Depth=1
	s_waitcnt vmcnt(0) lgkmcnt(0)
	buffer_wbinvl1_vol
	s_barrier
.LBB4_630:                              ;   in Loop: Header=BB4_587 Depth=1
	s_or_b64 exec, exec, s[20:21]
.LBB4_631:                              ;   in Loop: Header=BB4_587 Depth=1
	s_or_b64 exec, exec, s[18:19]
	s_trap 2
	ds_read_b32 v0, v0
	v_and_b32_e32 v1, 0x4000, v62
	v_cmp_ne_u32_e32 vcc, 0, v1
	s_and_b64 s[20:21], s[38:39], vcc
	s_and_saveexec_b64 s[18:19], s[20:21]
	s_cbranch_execz .LBB4_650
; %bb.632:                              ;   in Loop: Header=BB4_587 Depth=1
	s_and_saveexec_b64 s[20:21], s[34:35]
	s_xor_b64 s[20:21], exec, s[20:21]
	s_cbranch_execz .LBB4_647
; %bb.633:                              ;   in Loop: Header=BB4_587 Depth=1
	s_and_saveexec_b64 s[22:23], s[12:13]
	s_cbranch_execz .LBB4_646
; %bb.634:                              ;   in Loop: Header=BB4_587 Depth=1
	s_mov_b64 s[46:47], exec
	v_mbcnt_lo_u32_b32 v1, s46, 0
	v_mbcnt_hi_u32_b32 v1, s47, v1
	v_cmp_eq_u32_e32 vcc, 0, v1
	s_waitcnt vmcnt(0) lgkmcnt(0)
	buffer_wbinvl1_vol
	s_and_saveexec_b64 s[44:45], vcc
	s_cbranch_execz .LBB4_636
; %bb.635:                              ;   in Loop: Header=BB4_587 Depth=1
	s_bcnt1_i32_b64 vcc_lo, s[46:47]
	v_mov_b32_e32 v52, vcc_lo
	ds_add_u64 v0, v[52:53]
	s_trap 2
.LBB4_636:                              ;   in Loop: Header=BB4_587 Depth=1
	s_or_b64 exec, exec, s[44:45]
	s_trap 2
	ds_read_b64 v[2:3], v0
	v_accvgpr_read_b32 v4, a18
	v_accvgpr_read_b32 v5, a19
	v_add_co_u32_e32 v4, vcc, v4, v28
	v_addc_co_u32_e32 v5, vcc, 0, v5, vcc
	v_accvgpr_write_b32 a19, v5
	v_accvgpr_write_b32 a18, v4
	s_waitcnt lgkmcnt(0)
	v_cmp_lt_u64_e32 vcc, v[2:3], v[4:5]
	s_and_saveexec_b64 s[44:45], vcc
	s_cbranch_execz .LBB4_645
; %bb.637:                              ;   in Loop: Header=BB4_587 Depth=1
	s_mov_b32 s56, 0
	s_mov_b64 s[46:47], 0
                                        ; implicit-def: $sgpr48_sgpr49
                                        ; implicit-def: $sgpr50_sgpr51
	s_branch .LBB4_639
.LBB4_638:                              ;   in Loop: Header=BB4_639 Depth=2
	s_or_b64 exec, exec, s[54:55]
	s_and_b64 vcc, exec, vcc
	s_or_b64 s[46:47], vcc, s[46:47]
	s_andn2_b64 vcc, s[48:49], exec
	s_and_b64 s[48:49], s[50:51], exec
	s_or_b64 s[48:49], vcc, s[48:49]
	s_andn2_b64 exec, exec, s[46:47]
	s_cbranch_execz .LBB4_643
.LBB4_639:                              ;   Parent Loop BB4_587 Depth=1
                                        ; =>  This Inner Loop Header: Depth=2
	s_add_i32 s56, s56, 1
	s_cmpk_lg_i32 s56, 0x2710
	s_cselect_b64 s[52:53], -1, 0
	s_and_b64 vcc, exec, s[52:53]
                                        ; implicit-def: $sgpr54_sgpr55
	s_cbranch_vccnz .LBB4_641
; %bb.640:                              ;   in Loop: Header=BB4_639 Depth=2
	s_trap 2
	ds_read_b64 v[2:3], v0
	s_andn2_b64 s[52:53], s[52:53], exec
	s_mov_b32 s56, 0
	s_mov_b64 s[54:55], -1
	s_waitcnt lgkmcnt(0)
	flat_load_dword v1, v[2:3] glc
	s_waitcnt vmcnt(0) lgkmcnt(0)
	buffer_invl2
	buffer_wbinvl1_vol
	v_cmp_eq_u32_e32 vcc, 0, v1
	s_and_b64 vcc, vcc, exec
	s_or_b64 s[52:53], s[52:53], vcc
.LBB4_641:                              ;   in Loop: Header=BB4_639 Depth=2
	s_andn2_b64 s[50:51], s[50:51], exec
	s_and_b64 s[54:55], s[54:55], exec
	s_mov_b64 vcc, -1
	s_or_b64 s[50:51], s[50:51], s[54:55]
	s_and_saveexec_b64 s[54:55], s[52:53]
	s_cbranch_execz .LBB4_638
; %bb.642:                              ;   in Loop: Header=BB4_639 Depth=2
	s_sleep 1
	s_trap 2
	ds_read_b64 v[2:3], v0
	v_accvgpr_read_b32 v4, a18
	v_accvgpr_read_b32 v5, a19
	s_andn2_b64 s[50:51], s[50:51], exec
	s_waitcnt lgkmcnt(0)
	v_cmp_ge_u64_e32 vcc, v[2:3], v[4:5]
	s_orn2_b64 vcc, vcc, exec
	s_branch .LBB4_638
.LBB4_643:                              ;   in Loop: Header=BB4_587 Depth=1
	s_or_b64 exec, exec, s[46:47]
	s_and_saveexec_b64 vcc, s[48:49]
	s_xor_b64 vcc, exec, vcc
	s_cbranch_execz .LBB4_645
; %bb.644:                              ;   in Loop: Header=BB4_587 Depth=1
	v_mov_b32_e32 v1, 1
	ds_write_b32 v0, v1
	s_trap 2
.LBB4_645:                              ;   in Loop: Header=BB4_587 Depth=1
	s_or_b64 exec, exec, s[44:45]
	;;#ASMSTART
	s_wakeup
	;;#ASMEND
.LBB4_646:                              ;   in Loop: Header=BB4_587 Depth=1
	s_or_b64 exec, exec, s[22:23]
.LBB4_647:                              ;   in Loop: Header=BB4_587 Depth=1
	s_andn2_saveexec_b64 s[20:21], s[20:21]
	s_cbranch_execz .LBB4_649
; %bb.648:                              ;   in Loop: Header=BB4_587 Depth=1
	s_waitcnt vmcnt(0) lgkmcnt(0)
	buffer_wbinvl1_vol
	s_barrier
.LBB4_649:                              ;   in Loop: Header=BB4_587 Depth=1
	s_or_b64 exec, exec, s[20:21]
.LBB4_650:                              ;   in Loop: Header=BB4_587 Depth=1
	s_or_b64 exec, exec, s[18:19]
	s_trap 2
	s_waitcnt lgkmcnt(0)
	ds_read_b64 v[2:3], v0
	v_accvgpr_read_b32 v4, a46
	v_min_u32_e32 v22, v22, v4
	s_waitcnt lgkmcnt(0)
	v_readfirstlane_b32 s18, v2
	v_readfirstlane_b32 s19, v3
	s_cmp_eq_u64 s[18:19], 0
	s_cselect_b64 s[18:19], -1, 0
	s_or_b64 s[20:21], s[18:19], s[18:19]
	s_mov_b64 s[18:19], 0
	s_and_b64 vcc, exec, s[20:21]
	s_cbranch_vccnz .LBB4_1036
; %bb.651:                              ;   in Loop: Header=BB4_587 Depth=1
	s_mov_b64 s[18:19], -1
	s_and_saveexec_b64 s[20:21], s[14:15]
	s_cbranch_execz .LBB4_653
; %bb.652:                              ;   in Loop: Header=BB4_587 Depth=1
	ds_read_b32 v1, v0 offset:720
	s_waitcnt lgkmcnt(0)
	v_and_b32_e32 v1, 15, v1
	v_cmp_eq_u32_e32 vcc, 0, v1
	s_orn2_b64 s[18:19], vcc, exec
.LBB4_653:                              ;   in Loop: Header=BB4_587 Depth=1
	s_or_b64 exec, exec, s[20:21]
	s_and_saveexec_b64 s[20:21], s[16:17]
	s_cbranch_execz .LBB4_655
; %bb.654:                              ;   in Loop: Header=BB4_587 Depth=1
	ds_read_b32 v1, v0 offset:784
	s_waitcnt lgkmcnt(0)
	v_and_b32_e32 v1, 15, v1
	v_cmp_eq_u32_e32 vcc, 0, v1
	s_and_b64 s[22:23], s[18:19], vcc
	s_andn2_b64 s[18:19], s[18:19], exec
	s_and_b64 s[22:23], s[22:23], exec
	s_or_b64 s[18:19], s[18:19], s[22:23]
.LBB4_655:                              ;   in Loop: Header=BB4_587 Depth=1
	s_or_b64 exec, exec, s[20:21]
	s_xor_b64 s[18:19], s[18:19], -1
	v_cmp_eq_u32_e32 vcc, 0, v0
	v_cndmask_b32_e64 v0, 0, 1, s[18:19]
	;;#ASMSTART
	;;#ASMEND
	s_trap 2
	ds_read_b64 v[4:5], v0
	v_accvgpr_write_b32 a10, v16
	v_accvgpr_write_b32 a2, v8
	v_cndmask_b32_e32 v23, 0, v22, vcc
	v_accvgpr_write_b32 a11, v17
	v_accvgpr_write_b32 a12, v18
	;; [unrolled: 1-line block ×4, first 2 shown]
	v_mov_b32_e32 v19, 0
	v_lshlrev_b32_e32 v24, 1, v23
	s_mov_b64 s[18:19], -1
	v_cmp_ne_u32_e32 vcc, 0, v0
	s_cbranch_vccz .LBB4_657
; %bb.656:                              ;   in Loop: Header=BB4_587 Depth=1
	v_mov_b32_e32 v20, v30
	v_mov_b32_e32 v0, v29
	s_and_saveexec_b64 s[22:23], s[18:19]
	s_cbranch_execnz .LBB4_975
	s_branch .LBB4_1035
.LBB4_657:                              ;   in Loop: Header=BB4_587 Depth=1
	v_lshrrev_b32_e32 v0, 10, v23
	v_accvgpr_write_b32 a49, v0
	v_sub_u32_e32 v52, v0, v29
	s_waitcnt lgkmcnt(0)
	v_add_co_u32_e32 v0, vcc, v4, v32
	v_accvgpr_write_b32 a51, v5
	v_addc_co_u32_e32 v1, vcc, v5, v33, vcc
	v_accvgpr_write_b32 a48, v24
	v_accvgpr_write_b32 a45, v22
	;; [unrolled: 1-line block ×4, first 2 shown]
	v_cmp_lt_i32_e32 vcc, 0, v52
	s_mov_b64 s[20:21], 0
                                        ; implicit-def: $vgpr22_vgpr23
                                        ; implicit-def: $vgpr18_vgpr19
                                        ; implicit-def: $vgpr14_vgpr15
                                        ; implicit-def: $vgpr10_vgpr11
	s_and_saveexec_b64 s[18:19], vcc
	s_cbranch_execz .LBB4_793
; %bb.658:                              ;   in Loop: Header=BB4_587 Depth=1
	s_trap 2
	ds_read_b128 v[2:5], v0
	v_accvgpr_write_b32 a39, v51
	v_accvgpr_write_b32 a38, v50
	;; [unrolled: 1-line block ×4, first 2 shown]
	s_waitcnt lgkmcnt(0)
	v_add_co_u32_e32 v2, vcc, v2, v32
	v_addc_co_u32_e32 v3, vcc, v3, v33, vcc
	v_add_co_u32_e32 v54, vcc, v4, v32
	v_accvgpr_write_b32 a35, v39
	v_accvgpr_write_b32 a34, v38
	;; [unrolled: 1-line block ×9, first 2 shown]
	v_mov_b32_e32 v9, v31
	v_accvgpr_write_b32 a24, v32
	v_accvgpr_write_b32 a25, v33
	v_addc_co_u32_e32 v55, vcc, v5, v33, vcc
	s_mov_b64 s[44:45], 0
                                        ; implicit-def: $sgpr22_sgpr23
                                        ; implicit-def: $vgpr12_vgpr13
                                        ; implicit-def: $vgpr16_vgpr17
                                        ; implicit-def: $vgpr20_vgpr21
                                        ; implicit-def: $vgpr24_vgpr25
	s_branch .LBB4_660
.LBB4_659:                              ;   in Loop: Header=BB4_660 Depth=2
	s_or_b64 exec, exec, s[46:47]
	v_lshrrev_b32_e32 v2, 16, v31
	v_and_or_b32 v49, v49, s67, v2
	v_lshrrev_b32_e32 v2, 16, v58
	v_and_or_b32 v48, v48, s67, v2
	;; [unrolled: 2-line block ×4, first 2 shown]
	v_lshrrev_b32_e32 v2, 16, v5
	v_lshrrev_b32_e32 v4, 16, v30
	v_and_or_b32 v3, v33, s67, v2
	v_lshrrev_b32_e32 v2, 16, v37
	v_and_or_b32 v4, v28, s67, v4
	;; [unrolled: 2-line block ×3, first 2 shown]
	v_and_or_b32 v5, v7, s67, v5
	global_store_dwordx4 v[0:1], v[48:51], off glc slc
	global_store_dwordx4 v[0:1], v[2:5], off offset:1024 glc slc
	v_accvgpr_read_b32 v7, a28
	v_accvgpr_read_b32 v4, a26
	v_add_co_u32_e32 v2, vcc, v60, v4
	v_accvgpr_read_b32 v5, a27
	v_addc_co_u32_e32 v3, vcc, v61, v5, vcc
	v_add_co_u32_e32 v4, vcc, v54, v4
	v_mov_b32_e32 v8, 0x800
	v_addc_co_u32_e32 v5, vcc, v55, v5, vcc
	v_accvgpr_read_b32 v6, a29
	v_cndmask_b32_e64 v7, v8, v7, s[44:45]
	v_accvgpr_read_b32 v28, a22
	v_cndmask_b32_e64 v6, 0, v6, s[44:45]
	v_add_co_u32_e32 v0, vcc, v0, v7
	v_cndmask_b32_e64 v54, v54, v4, s[44:45]
	v_cndmask_b32_e64 v4, 0, v28, s[44:45]
	v_addc_co_u32_e32 v1, vcc, v1, v6, vcc
	v_sub_u32_e32 v52, v52, v4
	v_cmp_gt_i32_e32 vcc, 1, v52
	s_or_b64 s[20:21], vcc, s[20:21]
	s_andn2_b64 s[22:23], s[22:23], exec
	s_and_b64 vcc, s[44:45], exec
	v_cndmask_b32_e64 v3, v61, v3, s[44:45]
	v_cndmask_b32_e64 v2, v60, v2, s[44:45]
	;; [unrolled: 1-line block ×3, first 2 shown]
	s_or_b64 s[22:23], s[22:23], vcc
	s_andn2_b64 exec, exec, s[20:21]
	s_cbranch_execz .LBB4_792
.LBB4_660:                              ;   Parent Loop BB4_587 Depth=1
                                        ; =>  This Inner Loop Header: Depth=2
	v_accvgpr_write_b32 a22, v28
	global_load_dwordx4 v[48:51], v[2:3], off glc slc
	global_load_dwordx4 v[32:35], v[2:3], off offset:1024 glc slc
	global_load_dwordx4 v[36:39], v[54:55], off glc slc
	global_load_dwordx4 v[26:29], v[54:55], off offset:1024 glc slc
	s_and_saveexec_b64 s[46:47], s[44:45]
	s_cbranch_execz .LBB4_726
; %bb.661:                              ;   in Loop: Header=BB4_660 Depth=2
	v_lshlrev_b32_e32 v4, 16, v22
	v_lshlrev_b32_e32 v6, 16, v18
	v_pk_add_f32 v[60:61], v[4:5], v[6:7] op_sel_hi:[0,1]
	v_and_b32_e32 v4, 0x7f800000, v60
	v_cmp_ne_u32_e32 vcc, s65, v4
                                        ; implicit-def: $vgpr58
	s_and_saveexec_b64 s[44:45], vcc
	s_xor_b64 vcc, exec, s[44:45]
; %bb.662:                              ;   in Loop: Header=BB4_660 Depth=2
	v_bfe_u32 v4, v60, 16, 1
	v_add3_u32 v58, v60, v4, s66
                                        ; implicit-def: $vgpr60_vgpr61
; %bb.663:                              ;   in Loop: Header=BB4_660 Depth=2
	s_andn2_saveexec_b64 s[44:45], vcc
; %bb.664:                              ;   in Loop: Header=BB4_660 Depth=2
	v_or_b32_e32 v4, 0x10000, v60
	v_cmp_eq_u32_sdwa vcc, v60, v53 src0_sel:WORD_0 src1_sel:DWORD
	v_cndmask_b32_e32 v58, v4, v60, vcc
; %bb.665:                              ;   in Loop: Header=BB4_660 Depth=2
	s_or_b64 exec, exec, s[44:45]
	v_mov_b32_e32 v4, v18
	v_mov_b32_e32 v5, v22
	v_and_b32_e32 v6, 0xffff0000, v5
	v_and_b32_e32 v4, 0xffff0000, v4
	v_pk_add_f32 v[60:61], v[6:7], v[4:5] op_sel_hi:[0,1]
	v_and_b32_e32 v4, 0x7f800000, v60
	v_cmp_ne_u32_e32 vcc, s65, v4
                                        ; implicit-def: $vgpr59
	s_and_saveexec_b64 s[44:45], vcc
	s_xor_b64 vcc, exec, s[44:45]
; %bb.666:                              ;   in Loop: Header=BB4_660 Depth=2
	v_bfe_u32 v4, v60, 16, 1
	v_add3_u32 v59, v60, v4, s66
                                        ; implicit-def: $vgpr60_vgpr61
; %bb.667:                              ;   in Loop: Header=BB4_660 Depth=2
	s_andn2_saveexec_b64 s[44:45], vcc
; %bb.668:                              ;   in Loop: Header=BB4_660 Depth=2
	v_or_b32_e32 v4, 0x10000, v60
	v_cmp_eq_u32_sdwa vcc, v60, v53 src0_sel:WORD_0 src1_sel:DWORD
	v_cndmask_b32_e32 v59, v4, v60, vcc
; %bb.669:                              ;   in Loop: Header=BB4_660 Depth=2
	s_or_b64 exec, exec, s[44:45]
	v_lshlrev_b32_e32 v4, 16, v23
	v_lshlrev_b32_e32 v6, 16, v19
	v_pk_add_f32 v[60:61], v[4:5], v[6:7] op_sel_hi:[0,1]
	v_and_b32_e32 v4, 0x7f800000, v60
	v_cmp_ne_u32_e32 vcc, s65, v4
                                        ; implicit-def: $vgpr31
	s_and_saveexec_b64 s[44:45], vcc
	s_xor_b64 vcc, exec, s[44:45]
; %bb.670:                              ;   in Loop: Header=BB4_660 Depth=2
	v_bfe_u32 v4, v60, 16, 1
	v_add3_u32 v31, v60, v4, s66
                                        ; implicit-def: $vgpr60_vgpr61
; %bb.671:                              ;   in Loop: Header=BB4_660 Depth=2
	s_andn2_saveexec_b64 s[44:45], vcc
; %bb.672:                              ;   in Loop: Header=BB4_660 Depth=2
	v_or_b32_e32 v4, 0x10000, v60
	v_cmp_eq_u32_sdwa vcc, v60, v53 src0_sel:WORD_0 src1_sel:DWORD
	v_cndmask_b32_e32 v31, v4, v60, vcc
; %bb.673:                              ;   in Loop: Header=BB4_660 Depth=2
	s_or_b64 exec, exec, s[44:45]
	v_mov_b32_e32 v4, v19
	v_and_b32_e32 v6, 0xffff0000, v23
	v_and_b32_e32 v4, 0xffff0000, v4
	v_pk_add_f32 v[22:23], v[6:7], v[4:5] op_sel_hi:[0,1]
	v_and_b32_e32 v4, 0x7f800000, v22
	v_cmp_ne_u32_e32 vcc, s65, v4
                                        ; implicit-def: $vgpr60
	s_and_saveexec_b64 s[44:45], vcc
	s_xor_b64 vcc, exec, s[44:45]
; %bb.674:                              ;   in Loop: Header=BB4_660 Depth=2
	v_bfe_u32 v4, v22, 16, 1
	v_add3_u32 v60, v22, v4, s66
                                        ; implicit-def: $vgpr22_vgpr23
; %bb.675:                              ;   in Loop: Header=BB4_660 Depth=2
	s_andn2_saveexec_b64 s[44:45], vcc
; %bb.676:                              ;   in Loop: Header=BB4_660 Depth=2
	v_or_b32_e32 v4, 0x10000, v22
	v_cmp_eq_u32_sdwa vcc, v22, v53 src0_sel:WORD_0 src1_sel:DWORD
	v_cndmask_b32_e32 v60, v4, v22, vcc
; %bb.677:                              ;   in Loop: Header=BB4_660 Depth=2
	s_or_b64 exec, exec, s[44:45]
	v_lshlrev_b32_e32 v4, 16, v24
	v_lshlrev_b32_e32 v6, 16, v20
	v_pk_add_f32 v[22:23], v[4:5], v[6:7] op_sel_hi:[0,1]
	v_and_b32_e32 v4, 0x7f800000, v22
	v_cmp_ne_u32_e32 vcc, s65, v4
                                        ; implicit-def: $vgpr61
	s_and_saveexec_b64 s[44:45], vcc
	s_xor_b64 vcc, exec, s[44:45]
; %bb.678:                              ;   in Loop: Header=BB4_660 Depth=2
	v_bfe_u32 v4, v22, 16, 1
	v_add3_u32 v61, v22, v4, s66
                                        ; implicit-def: $vgpr22_vgpr23
; %bb.679:                              ;   in Loop: Header=BB4_660 Depth=2
	s_andn2_saveexec_b64 s[44:45], vcc
; %bb.680:                              ;   in Loop: Header=BB4_660 Depth=2
	v_or_b32_e32 v4, 0x10000, v22
	v_cmp_eq_u32_sdwa vcc, v22, v53 src0_sel:WORD_0 src1_sel:DWORD
	v_cndmask_b32_e32 v61, v4, v22, vcc
; %bb.681:                              ;   in Loop: Header=BB4_660 Depth=2
	s_or_b64 exec, exec, s[44:45]
	v_mov_b32_e32 v4, v20
	v_mov_b32_e32 v5, v24
	v_and_b32_e32 v6, 0xffff0000, v5
	v_and_b32_e32 v4, 0xffff0000, v4
	v_pk_add_f32 v[22:23], v[6:7], v[4:5] op_sel_hi:[0,1]
	v_and_b32_e32 v4, 0x7f800000, v22
	v_cmp_ne_u32_e32 vcc, s65, v4
                                        ; implicit-def: $vgpr24
	s_and_saveexec_b64 s[44:45], vcc
	s_xor_b64 vcc, exec, s[44:45]
; %bb.682:                              ;   in Loop: Header=BB4_660 Depth=2
	v_bfe_u32 v4, v22, 16, 1
	v_add3_u32 v24, v22, v4, s66
                                        ; implicit-def: $vgpr22_vgpr23
; %bb.683:                              ;   in Loop: Header=BB4_660 Depth=2
	s_andn2_saveexec_b64 s[44:45], vcc
; %bb.684:                              ;   in Loop: Header=BB4_660 Depth=2
	v_or_b32_e32 v4, 0x10000, v22
	v_cmp_eq_u32_sdwa vcc, v22, v53 src0_sel:WORD_0 src1_sel:DWORD
	v_cndmask_b32_e32 v24, v4, v22, vcc
; %bb.685:                              ;   in Loop: Header=BB4_660 Depth=2
	s_or_b64 exec, exec, s[44:45]
	v_lshlrev_b32_e32 v4, 16, v25
	v_lshlrev_b32_e32 v6, 16, v21
	v_pk_add_f32 v[22:23], v[4:5], v[6:7] op_sel_hi:[0,1]
	v_and_b32_e32 v4, 0x7f800000, v22
	v_cmp_ne_u32_e32 vcc, s65, v4
                                        ; implicit-def: $vgpr4
	s_and_saveexec_b64 s[44:45], vcc
	s_xor_b64 vcc, exec, s[44:45]
; %bb.686:                              ;   in Loop: Header=BB4_660 Depth=2
	v_bfe_u32 v4, v22, 16, 1
	v_add3_u32 v4, v22, v4, s66
                                        ; implicit-def: $vgpr22_vgpr23
; %bb.687:                              ;   in Loop: Header=BB4_660 Depth=2
	s_andn2_saveexec_b64 s[44:45], vcc
; %bb.688:                              ;   in Loop: Header=BB4_660 Depth=2
	v_or_b32_e32 v4, 0x10000, v22
	v_cmp_eq_u32_sdwa vcc, v22, v53 src0_sel:WORD_0 src1_sel:DWORD
	v_cndmask_b32_e32 v4, v4, v22, vcc
; %bb.689:                              ;   in Loop: Header=BB4_660 Depth=2
	s_or_b64 exec, exec, s[44:45]
	v_mov_b32_e32 v6, v21
	v_and_b32_e32 v8, 0xffff0000, v25
	v_and_b32_e32 v6, 0xffff0000, v6
	v_pk_add_f32 v[22:23], v[8:9], v[6:7] op_sel_hi:[0,1]
	v_and_b32_e32 v5, 0x7f800000, v22
	v_cmp_ne_u32_e32 vcc, s65, v5
                                        ; implicit-def: $vgpr25
	s_and_saveexec_b64 s[44:45], vcc
	s_xor_b64 vcc, exec, s[44:45]
; %bb.690:                              ;   in Loop: Header=BB4_660 Depth=2
	v_bfe_u32 v5, v22, 16, 1
	v_add3_u32 v25, v22, v5, s66
                                        ; implicit-def: $vgpr22_vgpr23
; %bb.691:                              ;   in Loop: Header=BB4_660 Depth=2
	s_andn2_saveexec_b64 s[44:45], vcc
; %bb.692:                              ;   in Loop: Header=BB4_660 Depth=2
	v_or_b32_e32 v5, 0x10000, v22
	v_cmp_eq_u32_sdwa vcc, v22, v53 src0_sel:WORD_0 src1_sel:DWORD
	v_cndmask_b32_e32 v25, v5, v22, vcc
; %bb.693:                              ;   in Loop: Header=BB4_660 Depth=2
	s_or_b64 exec, exec, s[44:45]
	v_lshlrev_b32_e32 v6, 16, v14
	v_lshlrev_b32_e32 v8, 16, v10
	v_pk_add_f32 v[22:23], v[6:7], v[8:9] op_sel_hi:[0,1]
	v_and_b32_e32 v5, 0x7f800000, v22
	v_cmp_ne_u32_e32 vcc, s65, v5
                                        ; implicit-def: $vgpr40
	s_and_saveexec_b64 s[44:45], vcc
	s_xor_b64 vcc, exec, s[44:45]
; %bb.694:                              ;   in Loop: Header=BB4_660 Depth=2
	v_bfe_u32 v5, v22, 16, 1
	v_add3_u32 v40, v22, v5, s66
                                        ; implicit-def: $vgpr22_vgpr23
; %bb.695:                              ;   in Loop: Header=BB4_660 Depth=2
	s_andn2_saveexec_b64 s[44:45], vcc
; %bb.696:                              ;   in Loop: Header=BB4_660 Depth=2
	v_or_b32_e32 v5, 0x10000, v22
	v_cmp_eq_u32_sdwa vcc, v22, v53 src0_sel:WORD_0 src1_sel:DWORD
	v_cndmask_b32_e32 v40, v5, v22, vcc
; %bb.697:                              ;   in Loop: Header=BB4_660 Depth=2
	s_or_b64 exec, exec, s[44:45]
	v_mov_b32_e32 v6, v10
	v_mov_b32_e32 v5, v14
	v_and_b32_e32 v8, 0xffff0000, v5
	v_and_b32_e32 v6, 0xffff0000, v6
	v_pk_add_f32 v[22:23], v[8:9], v[6:7] op_sel_hi:[0,1]
	v_and_b32_e32 v5, 0x7f800000, v22
	v_cmp_ne_u32_e32 vcc, s65, v5
                                        ; implicit-def: $vgpr41
	s_and_saveexec_b64 s[44:45], vcc
	s_xor_b64 vcc, exec, s[44:45]
; %bb.698:                              ;   in Loop: Header=BB4_660 Depth=2
	v_bfe_u32 v5, v22, 16, 1
	v_add3_u32 v41, v22, v5, s66
                                        ; implicit-def: $vgpr22_vgpr23
; %bb.699:                              ;   in Loop: Header=BB4_660 Depth=2
	s_andn2_saveexec_b64 s[44:45], vcc
; %bb.700:                              ;   in Loop: Header=BB4_660 Depth=2
	v_or_b32_e32 v5, 0x10000, v22
	v_cmp_eq_u32_sdwa vcc, v22, v53 src0_sel:WORD_0 src1_sel:DWORD
	v_cndmask_b32_e32 v41, v5, v22, vcc
; %bb.701:                              ;   in Loop: Header=BB4_660 Depth=2
	s_or_b64 exec, exec, s[44:45]
	v_lshlrev_b32_e32 v6, 16, v15
	v_lshlrev_b32_e32 v8, 16, v11
	v_pk_add_f32 v[22:23], v[6:7], v[8:9] op_sel_hi:[0,1]
	v_and_b32_e32 v5, 0x7f800000, v22
	v_cmp_ne_u32_e32 vcc, s65, v5
                                        ; implicit-def: $vgpr5
	s_and_saveexec_b64 s[44:45], vcc
	s_xor_b64 vcc, exec, s[44:45]
; %bb.702:                              ;   in Loop: Header=BB4_660 Depth=2
	v_bfe_u32 v5, v22, 16, 1
	v_add3_u32 v5, v22, v5, s66
                                        ; implicit-def: $vgpr22_vgpr23
; %bb.703:                              ;   in Loop: Header=BB4_660 Depth=2
	s_andn2_saveexec_b64 s[44:45], vcc
; %bb.704:                              ;   in Loop: Header=BB4_660 Depth=2
	v_or_b32_e32 v5, 0x10000, v22
	v_cmp_eq_u32_sdwa vcc, v22, v53 src0_sel:WORD_0 src1_sel:DWORD
	v_cndmask_b32_e32 v5, v5, v22, vcc
; %bb.705:                              ;   in Loop: Header=BB4_660 Depth=2
	s_or_b64 exec, exec, s[44:45]
	v_mov_b32_e32 v6, v11
	v_and_b32_e32 v8, 0xffff0000, v15
	v_and_b32_e32 v6, 0xffff0000, v6
	v_pk_add_f32 v[14:15], v[8:9], v[6:7] op_sel_hi:[0,1]
	v_and_b32_e32 v6, 0x7f800000, v14
	v_cmp_ne_u32_e32 vcc, s65, v6
                                        ; implicit-def: $vgpr57
	s_and_saveexec_b64 s[44:45], vcc
	s_xor_b64 vcc, exec, s[44:45]
; %bb.706:                              ;   in Loop: Header=BB4_660 Depth=2
	v_bfe_u32 v6, v14, 16, 1
	v_add3_u32 v57, v14, v6, s66
                                        ; implicit-def: $vgpr14_vgpr15
; %bb.707:                              ;   in Loop: Header=BB4_660 Depth=2
	s_andn2_saveexec_b64 s[44:45], vcc
; %bb.708:                              ;   in Loop: Header=BB4_660 Depth=2
	v_or_b32_e32 v6, 0x10000, v14
	v_cmp_eq_u32_sdwa vcc, v14, v53 src0_sel:WORD_0 src1_sel:DWORD
	v_cndmask_b32_e32 v57, v6, v14, vcc
; %bb.709:                              ;   in Loop: Header=BB4_660 Depth=2
	s_or_b64 exec, exec, s[44:45]
	v_lshlrev_b32_e32 v6, 16, v16
	v_lshlrev_b32_e32 v8, 16, v12
	v_pk_add_f32 v[14:15], v[6:7], v[8:9] op_sel_hi:[0,1]
	v_and_b32_e32 v6, 0x7f800000, v14
	v_cmp_ne_u32_e32 vcc, s65, v6
                                        ; implicit-def: $vgpr30
	s_and_saveexec_b64 s[44:45], vcc
	s_xor_b64 vcc, exec, s[44:45]
; %bb.710:                              ;   in Loop: Header=BB4_660 Depth=2
	v_bfe_u32 v6, v14, 16, 1
	v_add3_u32 v30, v14, v6, s66
                                        ; implicit-def: $vgpr14_vgpr15
; %bb.711:                              ;   in Loop: Header=BB4_660 Depth=2
	s_andn2_saveexec_b64 s[44:45], vcc
; %bb.712:                              ;   in Loop: Header=BB4_660 Depth=2
	v_or_b32_e32 v6, 0x10000, v14
	v_cmp_eq_u32_sdwa vcc, v14, v53 src0_sel:WORD_0 src1_sel:DWORD
	v_cndmask_b32_e32 v30, v6, v14, vcc
; %bb.713:                              ;   in Loop: Header=BB4_660 Depth=2
	s_or_b64 exec, exec, s[44:45]
	v_mov_b32_e32 v6, v12
	v_mov_b32_e32 v7, v16
	v_and_b32_e32 v8, 0xffff0000, v7
	v_and_b32_e32 v6, 0xffff0000, v6
	v_pk_add_f32 v[14:15], v[8:9], v[6:7] op_sel_hi:[0,1]
	v_and_b32_e32 v6, 0x7f800000, v14
	v_cmp_ne_u32_e32 vcc, s65, v6
                                        ; implicit-def: $vgpr16
	s_and_saveexec_b64 s[44:45], vcc
	s_xor_b64 vcc, exec, s[44:45]
; %bb.714:                              ;   in Loop: Header=BB4_660 Depth=2
	v_bfe_u32 v6, v14, 16, 1
	v_add3_u32 v16, v14, v6, s66
                                        ; implicit-def: $vgpr14_vgpr15
; %bb.715:                              ;   in Loop: Header=BB4_660 Depth=2
	s_andn2_saveexec_b64 s[44:45], vcc
; %bb.716:                              ;   in Loop: Header=BB4_660 Depth=2
	v_or_b32_e32 v6, 0x10000, v14
	v_cmp_eq_u32_sdwa vcc, v14, v53 src0_sel:WORD_0 src1_sel:DWORD
	v_cndmask_b32_e32 v16, v6, v14, vcc
; %bb.717:                              ;   in Loop: Header=BB4_660 Depth=2
	s_or_b64 exec, exec, s[44:45]
	v_lshlrev_b32_e32 v6, 16, v17
	v_lshlrev_b32_e32 v8, 16, v13
	v_pk_add_f32 v[14:15], v[6:7], v[8:9] op_sel_hi:[0,1]
	v_and_b32_e32 v6, 0x7f800000, v14
	v_cmp_ne_u32_e32 vcc, s65, v6
                                        ; implicit-def: $vgpr6
	s_and_saveexec_b64 s[44:45], vcc
	s_xor_b64 vcc, exec, s[44:45]
; %bb.718:                              ;   in Loop: Header=BB4_660 Depth=2
	v_bfe_u32 v6, v14, 16, 1
	v_add3_u32 v6, v14, v6, s66
                                        ; implicit-def: $vgpr14_vgpr15
; %bb.719:                              ;   in Loop: Header=BB4_660 Depth=2
	s_andn2_saveexec_b64 s[44:45], vcc
; %bb.720:                              ;   in Loop: Header=BB4_660 Depth=2
	v_or_b32_e32 v6, 0x10000, v14
	v_cmp_eq_u32_sdwa vcc, v14, v53 src0_sel:WORD_0 src1_sel:DWORD
	v_cndmask_b32_e32 v6, v6, v14, vcc
; %bb.721:                              ;   in Loop: Header=BB4_660 Depth=2
	s_or_b64 exec, exec, s[44:45]
	v_mov_b32_e32 v8, v13
	v_and_b32_e32 v14, 0xffff0000, v17
	v_and_b32_e32 v8, 0xffff0000, v8
	v_pk_add_f32 v[14:15], v[14:15], v[8:9] op_sel_hi:[0,1]
	v_and_b32_e32 v7, 0x7f800000, v14
	v_cmp_ne_u32_e32 vcc, s65, v7
                                        ; implicit-def: $vgpr7
	s_and_saveexec_b64 s[44:45], vcc
	s_xor_b64 vcc, exec, s[44:45]
; %bb.722:                              ;   in Loop: Header=BB4_660 Depth=2
	v_bfe_u32 v7, v14, 16, 1
	v_add3_u32 v7, v14, v7, s66
                                        ; implicit-def: $vgpr14_vgpr15
; %bb.723:                              ;   in Loop: Header=BB4_660 Depth=2
	s_andn2_saveexec_b64 s[44:45], vcc
; %bb.724:                              ;   in Loop: Header=BB4_660 Depth=2
	v_or_b32_e32 v7, 0x10000, v14
	v_cmp_eq_u32_sdwa vcc, v14, v53 src0_sel:WORD_0 src1_sel:DWORD
	v_cndmask_b32_e32 v7, v7, v14, vcc
; %bb.725:                              ;   in Loop: Header=BB4_660 Depth=2
	s_or_b64 exec, exec, s[44:45]
	v_lshrrev_b32_e32 v4, 16, v4
	v_and_or_b32 v25, v25, s67, v4
	v_lshrrev_b32_e32 v4, 16, v5
	v_lshrrev_b32_e32 v8, 16, v31
	v_and_or_b32 v15, v57, s67, v4
	v_lshrrev_b32_e32 v4, 16, v40
	v_and_or_b32 v23, v60, s67, v8
	;; [unrolled: 2-line block ×6, first 2 shown]
	v_and_or_b32 v17, v7, s67, v4
	v_accvgpr_read_b32 v4, a28
	global_store_dwordx4 v[0:1], v[22:25], off glc slc
	global_store_dwordx4 v[0:1], v[14:17], off offset:1024 glc slc
	v_add_co_u32_e32 v0, vcc, v0, v4
	v_accvgpr_read_b32 v4, a29
	v_addc_co_u32_e32 v1, vcc, v1, v4, vcc
.LBB4_726:                              ;   in Loop: Header=BB4_660 Depth=2
	s_or_b64 exec, exec, s[46:47]
	v_accvgpr_read_b32 v4, a28
	v_add_co_u32_e32 v60, vcc, v2, v4
	v_accvgpr_read_b32 v2, a29
	v_addc_co_u32_e32 v61, vcc, v3, v2, vcc
	v_add_co_u32_e32 v54, vcc, v54, v4
	v_addc_co_u32_e32 v55, vcc, v55, v2, vcc
	v_accvgpr_read_b32 v2, a22
	v_sub_u32_e32 v52, v52, v2
	v_cmp_lt_i32_e64 s[44:45], 0, v52
	s_and_saveexec_b64 s[46:47], s[44:45]
	s_cbranch_execz .LBB4_728
; %bb.727:                              ;   in Loop: Header=BB4_660 Depth=2
	global_load_dwordx4 v[22:25], v[60:61], off glc slc
	global_load_dwordx4 v[14:17], v[60:61], off offset:1024 glc slc
	global_load_dwordx4 v[18:21], v[54:55], off glc slc
	global_load_dwordx4 v[10:13], v[54:55], off offset:1024 glc slc
	v_add_co_u32_e32 v60, vcc, s61, v60
	v_addc_co_u32_e32 v61, vcc, 0, v61, vcc
	v_add_co_u32_e32 v54, vcc, 0x800, v54
	v_addc_co_u32_e32 v55, vcc, 0, v55, vcc
.LBB4_728:                              ;   in Loop: Header=BB4_660 Depth=2
	s_or_b64 exec, exec, s[46:47]
	s_waitcnt vmcnt(0)
	v_lshlrev_b32_e32 v2, 16, v36
	v_lshlrev_b32_e32 v4, 16, v48
	v_pk_add_f32 v[2:3], v[2:3], v[4:5] op_sel_hi:[0,1]
	v_and_b32_e32 v3, 0x7f800000, v2
	v_cmp_ne_u32_e32 vcc, s65, v3
                                        ; implicit-def: $vgpr58
	s_and_saveexec_b64 s[46:47], vcc
	s_xor_b64 vcc, exec, s[46:47]
; %bb.729:                              ;   in Loop: Header=BB4_660 Depth=2
	v_bfe_u32 v3, v2, 16, 1
	v_add3_u32 v58, v2, v3, s66
                                        ; implicit-def: $vgpr2_vgpr3
; %bb.730:                              ;   in Loop: Header=BB4_660 Depth=2
	s_andn2_saveexec_b64 s[46:47], vcc
; %bb.731:                              ;   in Loop: Header=BB4_660 Depth=2
	v_or_b32_e32 v3, 0x10000, v2
	v_cmp_eq_u32_sdwa vcc, v2, v53 src0_sel:WORD_0 src1_sel:DWORD
	v_cndmask_b32_e32 v58, v3, v2, vcc
; %bb.732:                              ;   in Loop: Header=BB4_660 Depth=2
	s_or_b64 exec, exec, s[46:47]
	v_and_b32_e32 v2, 0xffff0000, v36
	v_and_b32_e32 v4, 0xffff0000, v48
	v_pk_add_f32 v[2:3], v[2:3], v[4:5] op_sel_hi:[0,1]
	v_and_b32_e32 v3, 0x7f800000, v2
	v_cmp_ne_u32_e32 vcc, s65, v3
                                        ; implicit-def: $vgpr48
	s_and_saveexec_b64 s[46:47], vcc
	s_xor_b64 vcc, exec, s[46:47]
; %bb.733:                              ;   in Loop: Header=BB4_660 Depth=2
	v_bfe_u32 v3, v2, 16, 1
	v_add3_u32 v48, v2, v3, s66
                                        ; implicit-def: $vgpr2_vgpr3
; %bb.734:                              ;   in Loop: Header=BB4_660 Depth=2
	s_andn2_saveexec_b64 s[46:47], vcc
; %bb.735:                              ;   in Loop: Header=BB4_660 Depth=2
	v_or_b32_e32 v3, 0x10000, v2
	v_cmp_eq_u32_sdwa vcc, v2, v53 src0_sel:WORD_0 src1_sel:DWORD
	v_cndmask_b32_e32 v48, v3, v2, vcc
; %bb.736:                              ;   in Loop: Header=BB4_660 Depth=2
	s_or_b64 exec, exec, s[46:47]
	v_mov_b32_e32 v3, v37
	v_lshlrev_b32_e32 v2, 16, v3
	v_lshlrev_b32_e32 v4, 16, v49
	v_pk_add_f32 v[36:37], v[2:3], v[4:5] op_sel_hi:[0,1]
	v_and_b32_e32 v2, 0x7f800000, v36
	v_cmp_ne_u32_e32 vcc, s65, v2
                                        ; implicit-def: $vgpr31
	s_and_saveexec_b64 s[46:47], vcc
	s_xor_b64 vcc, exec, s[46:47]
; %bb.737:                              ;   in Loop: Header=BB4_660 Depth=2
	v_bfe_u32 v2, v36, 16, 1
	v_add3_u32 v31, v36, v2, s66
                                        ; implicit-def: $vgpr36_vgpr37
; %bb.738:                              ;   in Loop: Header=BB4_660 Depth=2
	s_andn2_saveexec_b64 s[46:47], vcc
; %bb.739:                              ;   in Loop: Header=BB4_660 Depth=2
	v_or_b32_e32 v2, 0x10000, v36
	v_cmp_eq_u32_sdwa vcc, v36, v53 src0_sel:WORD_0 src1_sel:DWORD
	v_cndmask_b32_e32 v31, v2, v36, vcc
; %bb.740:                              ;   in Loop: Header=BB4_660 Depth=2
	s_or_b64 exec, exec, s[46:47]
	v_and_b32_e32 v2, 0xffff0000, v3
	v_and_b32_e32 v4, 0xffff0000, v49
	v_pk_add_f32 v[2:3], v[2:3], v[4:5] op_sel_hi:[0,1]
	v_and_b32_e32 v3, 0x7f800000, v2
	v_cmp_ne_u32_e32 vcc, s65, v3
                                        ; implicit-def: $vgpr49
	s_and_saveexec_b64 s[46:47], vcc
	s_xor_b64 vcc, exec, s[46:47]
; %bb.741:                              ;   in Loop: Header=BB4_660 Depth=2
	v_bfe_u32 v3, v2, 16, 1
	v_add3_u32 v49, v2, v3, s66
                                        ; implicit-def: $vgpr2_vgpr3
; %bb.742:                              ;   in Loop: Header=BB4_660 Depth=2
	s_andn2_saveexec_b64 s[46:47], vcc
; %bb.743:                              ;   in Loop: Header=BB4_660 Depth=2
	v_or_b32_e32 v3, 0x10000, v2
	v_cmp_eq_u32_sdwa vcc, v2, v53 src0_sel:WORD_0 src1_sel:DWORD
	v_cndmask_b32_e32 v49, v3, v2, vcc
; %bb.744:                              ;   in Loop: Header=BB4_660 Depth=2
	s_or_b64 exec, exec, s[46:47]
	v_lshlrev_b32_e32 v2, 16, v38
	v_lshlrev_b32_e32 v4, 16, v50
	v_pk_add_f32 v[2:3], v[2:3], v[4:5] op_sel_hi:[0,1]
	v_and_b32_e32 v3, 0x7f800000, v2
	v_cmp_ne_u32_e32 vcc, s65, v3
                                        ; implicit-def: $vgpr59
	s_and_saveexec_b64 s[46:47], vcc
	s_xor_b64 vcc, exec, s[46:47]
; %bb.745:                              ;   in Loop: Header=BB4_660 Depth=2
	v_bfe_u32 v3, v2, 16, 1
	v_add3_u32 v59, v2, v3, s66
                                        ; implicit-def: $vgpr2_vgpr3
; %bb.746:                              ;   in Loop: Header=BB4_660 Depth=2
	s_andn2_saveexec_b64 s[46:47], vcc
; %bb.747:                              ;   in Loop: Header=BB4_660 Depth=2
	v_or_b32_e32 v3, 0x10000, v2
	v_cmp_eq_u32_sdwa vcc, v2, v53 src0_sel:WORD_0 src1_sel:DWORD
	v_cndmask_b32_e32 v59, v3, v2, vcc
; %bb.748:                              ;   in Loop: Header=BB4_660 Depth=2
	s_or_b64 exec, exec, s[46:47]
	v_and_b32_e32 v2, 0xffff0000, v38
	v_and_b32_e32 v4, 0xffff0000, v50
	v_pk_add_f32 v[2:3], v[2:3], v[4:5] op_sel_hi:[0,1]
	v_and_b32_e32 v3, 0x7f800000, v2
	v_cmp_ne_u32_e32 vcc, s65, v3
                                        ; implicit-def: $vgpr38
	s_and_saveexec_b64 s[46:47], vcc
	s_xor_b64 vcc, exec, s[46:47]
; %bb.749:                              ;   in Loop: Header=BB4_660 Depth=2
	v_bfe_u32 v3, v2, 16, 1
	v_add3_u32 v38, v2, v3, s66
                                        ; implicit-def: $vgpr2_vgpr3
; %bb.750:                              ;   in Loop: Header=BB4_660 Depth=2
	s_andn2_saveexec_b64 s[46:47], vcc
; %bb.751:                              ;   in Loop: Header=BB4_660 Depth=2
	v_or_b32_e32 v3, 0x10000, v2
	v_cmp_eq_u32_sdwa vcc, v2, v53 src0_sel:WORD_0 src1_sel:DWORD
	v_cndmask_b32_e32 v38, v3, v2, vcc
; %bb.752:                              ;   in Loop: Header=BB4_660 Depth=2
	s_or_b64 exec, exec, s[46:47]
	v_mov_b32_e32 v3, v51
	v_lshlrev_b32_e32 v2, 16, v39
	v_lshlrev_b32_e32 v4, 16, v3
	v_pk_add_f32 v[36:37], v[2:3], v[4:5] op_sel_hi:[0,1]
	v_and_b32_e32 v2, 0x7f800000, v36
	v_cmp_ne_u32_e32 vcc, s65, v2
                                        ; implicit-def: $vgpr4
	s_and_saveexec_b64 s[46:47], vcc
	s_xor_b64 vcc, exec, s[46:47]
; %bb.753:                              ;   in Loop: Header=BB4_660 Depth=2
	v_bfe_u32 v2, v36, 16, 1
	v_add3_u32 v4, v36, v2, s66
                                        ; implicit-def: $vgpr36_vgpr37
; %bb.754:                              ;   in Loop: Header=BB4_660 Depth=2
	s_andn2_saveexec_b64 s[46:47], vcc
; %bb.755:                              ;   in Loop: Header=BB4_660 Depth=2
	v_or_b32_e32 v2, 0x10000, v36
	v_cmp_eq_u32_sdwa vcc, v36, v53 src0_sel:WORD_0 src1_sel:DWORD
	v_cndmask_b32_e32 v4, v2, v36, vcc
; %bb.756:                              ;   in Loop: Header=BB4_660 Depth=2
	s_or_b64 exec, exec, s[46:47]
	v_and_b32_e32 v2, 0xffff0000, v39
	v_and_b32_e32 v6, 0xffff0000, v3
	v_pk_add_f32 v[2:3], v[2:3], v[6:7] op_sel_hi:[0,1]
	v_and_b32_e32 v3, 0x7f800000, v2
	v_cmp_ne_u32_e32 vcc, s65, v3
                                        ; implicit-def: $vgpr36
	s_and_saveexec_b64 s[46:47], vcc
	s_xor_b64 vcc, exec, s[46:47]
; %bb.757:                              ;   in Loop: Header=BB4_660 Depth=2
	v_bfe_u32 v3, v2, 16, 1
	v_add3_u32 v36, v2, v3, s66
                                        ; implicit-def: $vgpr2_vgpr3
; %bb.758:                              ;   in Loop: Header=BB4_660 Depth=2
	s_andn2_saveexec_b64 s[46:47], vcc
; %bb.759:                              ;   in Loop: Header=BB4_660 Depth=2
	v_or_b32_e32 v3, 0x10000, v2
	v_cmp_eq_u32_sdwa vcc, v2, v53 src0_sel:WORD_0 src1_sel:DWORD
	v_cndmask_b32_e32 v36, v3, v2, vcc
; %bb.760:                              ;   in Loop: Header=BB4_660 Depth=2
	s_or_b64 exec, exec, s[46:47]
	v_lshlrev_b32_e32 v2, 16, v26
	v_lshlrev_b32_e32 v6, 16, v32
	v_pk_add_f32 v[2:3], v[2:3], v[6:7] op_sel_hi:[0,1]
	v_and_b32_e32 v3, 0x7f800000, v2
	v_cmp_ne_u32_e32 vcc, s65, v3
                                        ; implicit-def: $vgpr37
	s_and_saveexec_b64 s[46:47], vcc
	s_xor_b64 vcc, exec, s[46:47]
; %bb.761:                              ;   in Loop: Header=BB4_660 Depth=2
	v_bfe_u32 v3, v2, 16, 1
	v_add3_u32 v37, v2, v3, s66
                                        ; implicit-def: $vgpr2_vgpr3
; %bb.762:                              ;   in Loop: Header=BB4_660 Depth=2
	s_andn2_saveexec_b64 s[46:47], vcc
; %bb.763:                              ;   in Loop: Header=BB4_660 Depth=2
	v_or_b32_e32 v3, 0x10000, v2
	v_cmp_eq_u32_sdwa vcc, v2, v53 src0_sel:WORD_0 src1_sel:DWORD
	v_cndmask_b32_e32 v37, v3, v2, vcc
; %bb.764:                              ;   in Loop: Header=BB4_660 Depth=2
	s_or_b64 exec, exec, s[46:47]
	v_and_b32_e32 v2, 0xffff0000, v26
	v_and_b32_e32 v6, 0xffff0000, v32
	v_pk_add_f32 v[2:3], v[2:3], v[6:7] op_sel_hi:[0,1]
	v_and_b32_e32 v3, 0x7f800000, v2
	v_cmp_ne_u32_e32 vcc, s65, v3
                                        ; implicit-def: $vgpr32
	s_and_saveexec_b64 s[46:47], vcc
	s_xor_b64 vcc, exec, s[46:47]
; %bb.765:                              ;   in Loop: Header=BB4_660 Depth=2
	v_bfe_u32 v3, v2, 16, 1
	v_add3_u32 v32, v2, v3, s66
                                        ; implicit-def: $vgpr2_vgpr3
; %bb.766:                              ;   in Loop: Header=BB4_660 Depth=2
	s_andn2_saveexec_b64 s[46:47], vcc
; %bb.767:                              ;   in Loop: Header=BB4_660 Depth=2
	v_or_b32_e32 v3, 0x10000, v2
	v_cmp_eq_u32_sdwa vcc, v2, v53 src0_sel:WORD_0 src1_sel:DWORD
	v_cndmask_b32_e32 v32, v3, v2, vcc
; %bb.768:                              ;   in Loop: Header=BB4_660 Depth=2
	s_or_b64 exec, exec, s[46:47]
	v_mov_b32_e32 v3, v27
	v_lshlrev_b32_e32 v2, 16, v3
	v_lshlrev_b32_e32 v6, 16, v33
	v_pk_add_f32 v[26:27], v[2:3], v[6:7] op_sel_hi:[0,1]
	v_and_b32_e32 v2, 0x7f800000, v26
	v_cmp_ne_u32_e32 vcc, s65, v2
                                        ; implicit-def: $vgpr5
	s_and_saveexec_b64 s[46:47], vcc
	s_xor_b64 vcc, exec, s[46:47]
; %bb.769:                              ;   in Loop: Header=BB4_660 Depth=2
	v_bfe_u32 v2, v26, 16, 1
	v_add3_u32 v5, v26, v2, s66
                                        ; implicit-def: $vgpr26_vgpr27
; %bb.770:                              ;   in Loop: Header=BB4_660 Depth=2
	s_andn2_saveexec_b64 s[46:47], vcc
; %bb.771:                              ;   in Loop: Header=BB4_660 Depth=2
	v_or_b32_e32 v2, 0x10000, v26
	v_cmp_eq_u32_sdwa vcc, v26, v53 src0_sel:WORD_0 src1_sel:DWORD
	v_cndmask_b32_e32 v5, v2, v26, vcc
; %bb.772:                              ;   in Loop: Header=BB4_660 Depth=2
	s_or_b64 exec, exec, s[46:47]
	v_and_b32_e32 v2, 0xffff0000, v3
	v_and_b32_e32 v6, 0xffff0000, v33
	v_pk_add_f32 v[2:3], v[2:3], v[6:7] op_sel_hi:[0,1]
	v_and_b32_e32 v3, 0x7f800000, v2
	v_cmp_ne_u32_e32 vcc, s65, v3
                                        ; implicit-def: $vgpr33
	s_and_saveexec_b64 s[46:47], vcc
	s_xor_b64 vcc, exec, s[46:47]
; %bb.773:                              ;   in Loop: Header=BB4_660 Depth=2
	v_bfe_u32 v3, v2, 16, 1
	v_add3_u32 v33, v2, v3, s66
                                        ; implicit-def: $vgpr2_vgpr3
; %bb.774:                              ;   in Loop: Header=BB4_660 Depth=2
	s_andn2_saveexec_b64 s[46:47], vcc
; %bb.775:                              ;   in Loop: Header=BB4_660 Depth=2
	v_or_b32_e32 v3, 0x10000, v2
	v_cmp_eq_u32_sdwa vcc, v2, v53 src0_sel:WORD_0 src1_sel:DWORD
	v_cndmask_b32_e32 v33, v3, v2, vcc
; %bb.776:                              ;   in Loop: Header=BB4_660 Depth=2
	s_or_b64 exec, exec, s[46:47]
	v_lshlrev_b32_e32 v2, 16, v28
	v_lshlrev_b32_e32 v6, 16, v34
	v_pk_add_f32 v[2:3], v[2:3], v[6:7] op_sel_hi:[0,1]
	v_and_b32_e32 v3, 0x7f800000, v2
	v_cmp_ne_u32_e32 vcc, s65, v3
                                        ; implicit-def: $vgpr30
	s_and_saveexec_b64 s[46:47], vcc
	s_xor_b64 vcc, exec, s[46:47]
; %bb.777:                              ;   in Loop: Header=BB4_660 Depth=2
	v_bfe_u32 v3, v2, 16, 1
	v_add3_u32 v30, v2, v3, s66
                                        ; implicit-def: $vgpr2_vgpr3
; %bb.778:                              ;   in Loop: Header=BB4_660 Depth=2
	s_andn2_saveexec_b64 s[46:47], vcc
; %bb.779:                              ;   in Loop: Header=BB4_660 Depth=2
	v_or_b32_e32 v3, 0x10000, v2
	v_cmp_eq_u32_sdwa vcc, v2, v53 src0_sel:WORD_0 src1_sel:DWORD
	v_cndmask_b32_e32 v30, v3, v2, vcc
; %bb.780:                              ;   in Loop: Header=BB4_660 Depth=2
	s_or_b64 exec, exec, s[46:47]
	v_and_b32_e32 v2, 0xffff0000, v28
	v_and_b32_e32 v6, 0xffff0000, v34
	v_pk_add_f32 v[2:3], v[2:3], v[6:7] op_sel_hi:[0,1]
	v_and_b32_e32 v3, 0x7f800000, v2
	v_cmp_ne_u32_e32 vcc, s65, v3
                                        ; implicit-def: $vgpr28
	s_and_saveexec_b64 s[46:47], vcc
	s_xor_b64 vcc, exec, s[46:47]
; %bb.781:                              ;   in Loop: Header=BB4_660 Depth=2
	v_bfe_u32 v3, v2, 16, 1
	v_add3_u32 v28, v2, v3, s66
                                        ; implicit-def: $vgpr2_vgpr3
; %bb.782:                              ;   in Loop: Header=BB4_660 Depth=2
	s_andn2_saveexec_b64 s[46:47], vcc
; %bb.783:                              ;   in Loop: Header=BB4_660 Depth=2
	v_or_b32_e32 v3, 0x10000, v2
	v_cmp_eq_u32_sdwa vcc, v2, v53 src0_sel:WORD_0 src1_sel:DWORD
	v_cndmask_b32_e32 v28, v3, v2, vcc
; %bb.784:                              ;   in Loop: Header=BB4_660 Depth=2
	s_or_b64 exec, exec, s[46:47]
	v_mov_b32_e32 v3, v35
	v_lshlrev_b32_e32 v2, 16, v29
	v_lshlrev_b32_e32 v6, 16, v3
	v_pk_add_f32 v[26:27], v[2:3], v[6:7] op_sel_hi:[0,1]
	v_and_b32_e32 v2, 0x7f800000, v26
	v_cmp_ne_u32_e32 vcc, s65, v2
                                        ; implicit-def: $vgpr6
	s_and_saveexec_b64 s[46:47], vcc
	s_xor_b64 vcc, exec, s[46:47]
; %bb.785:                              ;   in Loop: Header=BB4_660 Depth=2
	v_bfe_u32 v2, v26, 16, 1
	v_add3_u32 v6, v26, v2, s66
                                        ; implicit-def: $vgpr26_vgpr27
; %bb.786:                              ;   in Loop: Header=BB4_660 Depth=2
	s_andn2_saveexec_b64 s[46:47], vcc
; %bb.787:                              ;   in Loop: Header=BB4_660 Depth=2
	v_or_b32_e32 v2, 0x10000, v26
	v_cmp_eq_u32_sdwa vcc, v26, v53 src0_sel:WORD_0 src1_sel:DWORD
	v_cndmask_b32_e32 v6, v2, v26, vcc
; %bb.788:                              ;   in Loop: Header=BB4_660 Depth=2
	s_or_b64 exec, exec, s[46:47]
	v_and_b32_e32 v2, 0xffff0000, v29
	v_and_b32_e32 v8, 0xffff0000, v3
	v_pk_add_f32 v[2:3], v[2:3], v[8:9] op_sel_hi:[0,1]
	v_and_b32_e32 v3, 0x7f800000, v2
	v_cmp_ne_u32_e32 vcc, s65, v3
                                        ; implicit-def: $vgpr7
	s_and_saveexec_b64 s[46:47], vcc
	s_xor_b64 vcc, exec, s[46:47]
; %bb.789:                              ;   in Loop: Header=BB4_660 Depth=2
	v_bfe_u32 v3, v2, 16, 1
	v_add3_u32 v7, v2, v3, s66
                                        ; implicit-def: $vgpr2_vgpr3
; %bb.790:                              ;   in Loop: Header=BB4_660 Depth=2
	s_andn2_saveexec_b64 s[46:47], vcc
	s_cbranch_execz .LBB4_659
; %bb.791:                              ;   in Loop: Header=BB4_660 Depth=2
	v_or_b32_e32 v3, 0x10000, v2
	v_cmp_eq_u32_sdwa vcc, v2, v53 src0_sel:WORD_0 src1_sel:DWORD
	v_cndmask_b32_e32 v7, v3, v2, vcc
	s_branch .LBB4_659
.LBB4_792:                              ;   in Loop: Header=BB4_587 Depth=1
	s_or_b64 exec, exec, s[20:21]
	s_and_b64 s[20:21], s[22:23], exec
	v_mov_b32_e32 v31, v9
	v_accvgpr_read_b32 v27, a1
	v_accvgpr_read_b32 v29, a15
	;; [unrolled: 1-line block ×15, first 2 shown]
	v_mov_b32_e32 v54, 0x100
	v_mov_b32_e32 v55, 0x80
.LBB4_793:                              ;   in Loop: Header=BB4_587 Depth=1
	s_or_b64 exec, exec, s[18:19]
	s_and_saveexec_b64 s[18:19], s[20:21]
	s_cbranch_execz .LBB4_859
; %bb.794:                              ;   in Loop: Header=BB4_587 Depth=1
	v_lshlrev_b32_e32 v2, 16, v22
	v_lshlrev_b32_e32 v4, 16, v18
	v_pk_add_f32 v[2:3], v[2:3], v[4:5] op_sel_hi:[0,1]
	v_and_b32_e32 v3, 0x7f800000, v2
	v_cmp_ne_u32_e32 vcc, s65, v3
                                        ; implicit-def: $vgpr26
	s_and_saveexec_b64 s[20:21], vcc
	s_xor_b64 s[20:21], exec, s[20:21]
; %bb.795:                              ;   in Loop: Header=BB4_587 Depth=1
	v_bfe_u32 v3, v2, 16, 1
	v_add3_u32 v26, v2, v3, s66
                                        ; implicit-def: $vgpr2_vgpr3
; %bb.796:                              ;   in Loop: Header=BB4_587 Depth=1
	s_andn2_saveexec_b64 s[20:21], s[20:21]
; %bb.797:                              ;   in Loop: Header=BB4_587 Depth=1
	v_or_b32_e32 v3, 0x10000, v2
	v_cmp_eq_u32_sdwa vcc, v2, v53 src0_sel:WORD_0 src1_sel:DWORD
	v_cndmask_b32_e32 v26, v3, v2, vcc
; %bb.798:                              ;   in Loop: Header=BB4_587 Depth=1
	s_or_b64 exec, exec, s[20:21]
	v_mov_b32_e32 v2, v18
	v_mov_b32_e32 v3, v22
	v_and_b32_e32 v4, 0xffff0000, v3
	v_and_b32_e32 v2, 0xffff0000, v2
	v_pk_add_f32 v[2:3], v[4:5], v[2:3] op_sel_hi:[0,1]
	v_and_b32_e32 v3, 0x7f800000, v2
	v_cmp_ne_u32_e32 vcc, s65, v3
                                        ; implicit-def: $vgpr18
	s_and_saveexec_b64 s[20:21], vcc
	s_xor_b64 s[20:21], exec, s[20:21]
; %bb.799:                              ;   in Loop: Header=BB4_587 Depth=1
	v_bfe_u32 v3, v2, 16, 1
	v_add3_u32 v18, v2, v3, s66
                                        ; implicit-def: $vgpr2_vgpr3
; %bb.800:                              ;   in Loop: Header=BB4_587 Depth=1
	s_andn2_saveexec_b64 s[20:21], s[20:21]
; %bb.801:                              ;   in Loop: Header=BB4_587 Depth=1
	v_or_b32_e32 v3, 0x10000, v2
	v_cmp_eq_u32_sdwa vcc, v2, v53 src0_sel:WORD_0 src1_sel:DWORD
	v_cndmask_b32_e32 v18, v3, v2, vcc
; %bb.802:                              ;   in Loop: Header=BB4_587 Depth=1
	s_or_b64 exec, exec, s[20:21]
	v_lshlrev_b32_e32 v2, 16, v23
	v_lshlrev_b32_e32 v4, 16, v19
	v_pk_add_f32 v[2:3], v[2:3], v[4:5] op_sel_hi:[0,1]
	v_and_b32_e32 v3, 0x7f800000, v2
	v_cmp_ne_u32_e32 vcc, s65, v3
                                        ; implicit-def: $vgpr22
	s_and_saveexec_b64 s[20:21], vcc
	s_xor_b64 s[20:21], exec, s[20:21]
; %bb.803:                              ;   in Loop: Header=BB4_587 Depth=1
	v_bfe_u32 v3, v2, 16, 1
	v_add3_u32 v22, v2, v3, s66
                                        ; implicit-def: $vgpr2_vgpr3
; %bb.804:                              ;   in Loop: Header=BB4_587 Depth=1
	s_andn2_saveexec_b64 s[20:21], s[20:21]
; %bb.805:                              ;   in Loop: Header=BB4_587 Depth=1
	v_or_b32_e32 v3, 0x10000, v2
	v_cmp_eq_u32_sdwa vcc, v2, v53 src0_sel:WORD_0 src1_sel:DWORD
	v_cndmask_b32_e32 v22, v3, v2, vcc
; %bb.806:                              ;   in Loop: Header=BB4_587 Depth=1
	s_or_b64 exec, exec, s[20:21]
	v_mov_b32_e32 v2, v19
	v_and_b32_e32 v4, 0xffff0000, v23
	v_and_b32_e32 v2, 0xffff0000, v2
	v_pk_add_f32 v[2:3], v[4:5], v[2:3] op_sel_hi:[0,1]
	v_and_b32_e32 v3, 0x7f800000, v2
	v_cmp_ne_u32_e32 vcc, s65, v3
                                        ; implicit-def: $vgpr19
	s_and_saveexec_b64 s[20:21], vcc
	s_xor_b64 s[20:21], exec, s[20:21]
; %bb.807:                              ;   in Loop: Header=BB4_587 Depth=1
	v_bfe_u32 v3, v2, 16, 1
	v_add3_u32 v19, v2, v3, s66
                                        ; implicit-def: $vgpr2_vgpr3
; %bb.808:                              ;   in Loop: Header=BB4_587 Depth=1
	s_andn2_saveexec_b64 s[20:21], s[20:21]
; %bb.809:                              ;   in Loop: Header=BB4_587 Depth=1
	v_or_b32_e32 v3, 0x10000, v2
	v_cmp_eq_u32_sdwa vcc, v2, v53 src0_sel:WORD_0 src1_sel:DWORD
	v_cndmask_b32_e32 v19, v3, v2, vcc
; %bb.810:                              ;   in Loop: Header=BB4_587 Depth=1
	s_or_b64 exec, exec, s[20:21]
	v_lshlrev_b32_e32 v2, 16, v24
	v_lshlrev_b32_e32 v4, 16, v20
	v_pk_add_f32 v[2:3], v[2:3], v[4:5] op_sel_hi:[0,1]
	v_and_b32_e32 v3, 0x7f800000, v2
	v_cmp_ne_u32_e32 vcc, s65, v3
                                        ; implicit-def: $vgpr23
	s_and_saveexec_b64 s[20:21], vcc
	s_xor_b64 s[20:21], exec, s[20:21]
; %bb.811:                              ;   in Loop: Header=BB4_587 Depth=1
	v_bfe_u32 v3, v2, 16, 1
	v_add3_u32 v23, v2, v3, s66
                                        ; implicit-def: $vgpr2_vgpr3
; %bb.812:                              ;   in Loop: Header=BB4_587 Depth=1
	s_andn2_saveexec_b64 s[20:21], s[20:21]
; %bb.813:                              ;   in Loop: Header=BB4_587 Depth=1
	v_or_b32_e32 v3, 0x10000, v2
	v_cmp_eq_u32_sdwa vcc, v2, v53 src0_sel:WORD_0 src1_sel:DWORD
	v_cndmask_b32_e32 v23, v3, v2, vcc
; %bb.814:                              ;   in Loop: Header=BB4_587 Depth=1
	s_or_b64 exec, exec, s[20:21]
	v_mov_b32_e32 v2, v20
	v_mov_b32_e32 v3, v24
	v_and_b32_e32 v4, 0xffff0000, v3
	v_and_b32_e32 v2, 0xffff0000, v2
	v_pk_add_f32 v[2:3], v[4:5], v[2:3] op_sel_hi:[0,1]
	v_and_b32_e32 v3, 0x7f800000, v2
	v_cmp_ne_u32_e32 vcc, s65, v3
                                        ; implicit-def: $vgpr20
	s_and_saveexec_b64 s[20:21], vcc
	s_xor_b64 s[20:21], exec, s[20:21]
; %bb.815:                              ;   in Loop: Header=BB4_587 Depth=1
	v_bfe_u32 v3, v2, 16, 1
	v_add3_u32 v20, v2, v3, s66
                                        ; implicit-def: $vgpr2_vgpr3
; %bb.816:                              ;   in Loop: Header=BB4_587 Depth=1
	s_andn2_saveexec_b64 s[20:21], s[20:21]
; %bb.817:                              ;   in Loop: Header=BB4_587 Depth=1
	v_or_b32_e32 v3, 0x10000, v2
	v_cmp_eq_u32_sdwa vcc, v2, v53 src0_sel:WORD_0 src1_sel:DWORD
	v_cndmask_b32_e32 v20, v3, v2, vcc
; %bb.818:                              ;   in Loop: Header=BB4_587 Depth=1
	s_or_b64 exec, exec, s[20:21]
	v_lshlrev_b32_e32 v2, 16, v25
	v_lshlrev_b32_e32 v4, 16, v21
	v_pk_add_f32 v[2:3], v[2:3], v[4:5] op_sel_hi:[0,1]
	v_and_b32_e32 v3, 0x7f800000, v2
	v_cmp_ne_u32_e32 vcc, s65, v3
                                        ; implicit-def: $vgpr4
	s_and_saveexec_b64 s[20:21], vcc
	s_xor_b64 s[20:21], exec, s[20:21]
; %bb.819:                              ;   in Loop: Header=BB4_587 Depth=1
	v_bfe_u32 v3, v2, 16, 1
	v_add3_u32 v4, v2, v3, s66
                                        ; implicit-def: $vgpr2_vgpr3
; %bb.820:                              ;   in Loop: Header=BB4_587 Depth=1
	s_andn2_saveexec_b64 s[20:21], s[20:21]
; %bb.821:                              ;   in Loop: Header=BB4_587 Depth=1
	v_or_b32_e32 v3, 0x10000, v2
	v_cmp_eq_u32_sdwa vcc, v2, v53 src0_sel:WORD_0 src1_sel:DWORD
	v_cndmask_b32_e32 v4, v3, v2, vcc
; %bb.822:                              ;   in Loop: Header=BB4_587 Depth=1
	s_or_b64 exec, exec, s[20:21]
	v_mov_b32_e32 v2, v21
	v_and_b32_e32 v6, 0xffff0000, v25
	v_and_b32_e32 v2, 0xffff0000, v2
	v_pk_add_f32 v[2:3], v[6:7], v[2:3] op_sel_hi:[0,1]
	v_and_b32_e32 v3, 0x7f800000, v2
	v_cmp_ne_u32_e32 vcc, s65, v3
                                        ; implicit-def: $vgpr21
	s_and_saveexec_b64 s[20:21], vcc
	s_xor_b64 s[20:21], exec, s[20:21]
; %bb.823:                              ;   in Loop: Header=BB4_587 Depth=1
	v_bfe_u32 v3, v2, 16, 1
	v_add3_u32 v21, v2, v3, s66
                                        ; implicit-def: $vgpr2_vgpr3
; %bb.824:                              ;   in Loop: Header=BB4_587 Depth=1
	s_andn2_saveexec_b64 s[20:21], s[20:21]
; %bb.825:                              ;   in Loop: Header=BB4_587 Depth=1
	v_or_b32_e32 v3, 0x10000, v2
	v_cmp_eq_u32_sdwa vcc, v2, v53 src0_sel:WORD_0 src1_sel:DWORD
	v_cndmask_b32_e32 v21, v3, v2, vcc
; %bb.826:                              ;   in Loop: Header=BB4_587 Depth=1
	s_or_b64 exec, exec, s[20:21]
	v_lshlrev_b32_e32 v2, 16, v14
	v_lshlrev_b32_e32 v6, 16, v10
	v_pk_add_f32 v[2:3], v[2:3], v[6:7] op_sel_hi:[0,1]
	v_and_b32_e32 v3, 0x7f800000, v2
	v_cmp_ne_u32_e32 vcc, s65, v3
                                        ; implicit-def: $vgpr24
	s_and_saveexec_b64 s[20:21], vcc
	s_xor_b64 s[20:21], exec, s[20:21]
; %bb.827:                              ;   in Loop: Header=BB4_587 Depth=1
	v_bfe_u32 v3, v2, 16, 1
	v_add3_u32 v24, v2, v3, s66
                                        ; implicit-def: $vgpr2_vgpr3
; %bb.828:                              ;   in Loop: Header=BB4_587 Depth=1
	s_andn2_saveexec_b64 s[20:21], s[20:21]
; %bb.829:                              ;   in Loop: Header=BB4_587 Depth=1
	v_or_b32_e32 v3, 0x10000, v2
	v_cmp_eq_u32_sdwa vcc, v2, v53 src0_sel:WORD_0 src1_sel:DWORD
	v_cndmask_b32_e32 v24, v3, v2, vcc
; %bb.830:                              ;   in Loop: Header=BB4_587 Depth=1
	s_or_b64 exec, exec, s[20:21]
	v_mov_b32_e32 v2, v10
	v_mov_b32_e32 v3, v14
	v_and_b32_e32 v6, 0xffff0000, v3
	v_and_b32_e32 v2, 0xffff0000, v2
	v_pk_add_f32 v[2:3], v[6:7], v[2:3] op_sel_hi:[0,1]
	v_and_b32_e32 v3, 0x7f800000, v2
	v_cmp_ne_u32_e32 vcc, s65, v3
                                        ; implicit-def: $vgpr10
	s_and_saveexec_b64 s[20:21], vcc
	s_xor_b64 s[20:21], exec, s[20:21]
; %bb.831:                              ;   in Loop: Header=BB4_587 Depth=1
	v_bfe_u32 v3, v2, 16, 1
	v_add3_u32 v10, v2, v3, s66
                                        ; implicit-def: $vgpr2_vgpr3
; %bb.832:                              ;   in Loop: Header=BB4_587 Depth=1
	s_andn2_saveexec_b64 s[20:21], s[20:21]
; %bb.833:                              ;   in Loop: Header=BB4_587 Depth=1
	v_or_b32_e32 v3, 0x10000, v2
	v_cmp_eq_u32_sdwa vcc, v2, v53 src0_sel:WORD_0 src1_sel:DWORD
	v_cndmask_b32_e32 v10, v3, v2, vcc
; %bb.834:                              ;   in Loop: Header=BB4_587 Depth=1
	s_or_b64 exec, exec, s[20:21]
	v_lshlrev_b32_e32 v2, 16, v15
	v_lshlrev_b32_e32 v6, 16, v11
	v_pk_add_f32 v[2:3], v[2:3], v[6:7] op_sel_hi:[0,1]
	v_and_b32_e32 v3, 0x7f800000, v2
	v_cmp_ne_u32_e32 vcc, s65, v3
                                        ; implicit-def: $vgpr5
	s_and_saveexec_b64 s[20:21], vcc
	s_xor_b64 s[20:21], exec, s[20:21]
; %bb.835:                              ;   in Loop: Header=BB4_587 Depth=1
	v_bfe_u32 v3, v2, 16, 1
	v_add3_u32 v5, v2, v3, s66
                                        ; implicit-def: $vgpr2_vgpr3
; %bb.836:                              ;   in Loop: Header=BB4_587 Depth=1
	s_andn2_saveexec_b64 s[20:21], s[20:21]
; %bb.837:                              ;   in Loop: Header=BB4_587 Depth=1
	v_or_b32_e32 v3, 0x10000, v2
	v_cmp_eq_u32_sdwa vcc, v2, v53 src0_sel:WORD_0 src1_sel:DWORD
	v_cndmask_b32_e32 v5, v3, v2, vcc
; %bb.838:                              ;   in Loop: Header=BB4_587 Depth=1
	s_or_b64 exec, exec, s[20:21]
	v_mov_b32_e32 v2, v11
	v_and_b32_e32 v6, 0xffff0000, v15
	v_and_b32_e32 v2, 0xffff0000, v2
	v_pk_add_f32 v[2:3], v[6:7], v[2:3] op_sel_hi:[0,1]
	v_and_b32_e32 v3, 0x7f800000, v2
	v_cmp_ne_u32_e32 vcc, s65, v3
                                        ; implicit-def: $vgpr11
	s_and_saveexec_b64 s[20:21], vcc
	s_xor_b64 s[20:21], exec, s[20:21]
; %bb.839:                              ;   in Loop: Header=BB4_587 Depth=1
	v_bfe_u32 v3, v2, 16, 1
	v_add3_u32 v11, v2, v3, s66
                                        ; implicit-def: $vgpr2_vgpr3
; %bb.840:                              ;   in Loop: Header=BB4_587 Depth=1
	s_andn2_saveexec_b64 s[20:21], s[20:21]
; %bb.841:                              ;   in Loop: Header=BB4_587 Depth=1
	v_or_b32_e32 v3, 0x10000, v2
	v_cmp_eq_u32_sdwa vcc, v2, v53 src0_sel:WORD_0 src1_sel:DWORD
	v_cndmask_b32_e32 v11, v3, v2, vcc
; %bb.842:                              ;   in Loop: Header=BB4_587 Depth=1
	s_or_b64 exec, exec, s[20:21]
	v_lshlrev_b32_e32 v2, 16, v16
	v_lshlrev_b32_e32 v6, 16, v12
	v_pk_add_f32 v[2:3], v[2:3], v[6:7] op_sel_hi:[0,1]
	v_and_b32_e32 v3, 0x7f800000, v2
	v_cmp_ne_u32_e32 vcc, s65, v3
                                        ; implicit-def: $vgpr14
	s_and_saveexec_b64 s[20:21], vcc
	s_xor_b64 s[20:21], exec, s[20:21]
; %bb.843:                              ;   in Loop: Header=BB4_587 Depth=1
	v_bfe_u32 v3, v2, 16, 1
	v_add3_u32 v14, v2, v3, s66
                                        ; implicit-def: $vgpr2_vgpr3
; %bb.844:                              ;   in Loop: Header=BB4_587 Depth=1
	s_andn2_saveexec_b64 s[20:21], s[20:21]
; %bb.845:                              ;   in Loop: Header=BB4_587 Depth=1
	v_or_b32_e32 v3, 0x10000, v2
	v_cmp_eq_u32_sdwa vcc, v2, v53 src0_sel:WORD_0 src1_sel:DWORD
	v_cndmask_b32_e32 v14, v3, v2, vcc
; %bb.846:                              ;   in Loop: Header=BB4_587 Depth=1
	s_or_b64 exec, exec, s[20:21]
	v_mov_b32_e32 v2, v12
	v_mov_b32_e32 v3, v16
	v_and_b32_e32 v6, 0xffff0000, v3
	v_and_b32_e32 v2, 0xffff0000, v2
	v_pk_add_f32 v[2:3], v[6:7], v[2:3] op_sel_hi:[0,1]
	v_and_b32_e32 v3, 0x7f800000, v2
	v_cmp_ne_u32_e32 vcc, s65, v3
                                        ; implicit-def: $vgpr12
	s_and_saveexec_b64 s[20:21], vcc
	s_xor_b64 s[20:21], exec, s[20:21]
; %bb.847:                              ;   in Loop: Header=BB4_587 Depth=1
	v_bfe_u32 v3, v2, 16, 1
	v_add3_u32 v12, v2, v3, s66
                                        ; implicit-def: $vgpr2_vgpr3
; %bb.848:                              ;   in Loop: Header=BB4_587 Depth=1
	s_andn2_saveexec_b64 s[20:21], s[20:21]
; %bb.849:                              ;   in Loop: Header=BB4_587 Depth=1
	v_or_b32_e32 v3, 0x10000, v2
	v_cmp_eq_u32_sdwa vcc, v2, v53 src0_sel:WORD_0 src1_sel:DWORD
	v_cndmask_b32_e32 v12, v3, v2, vcc
; %bb.850:                              ;   in Loop: Header=BB4_587 Depth=1
	s_or_b64 exec, exec, s[20:21]
	v_lshlrev_b32_e32 v2, 16, v17
	v_lshlrev_b32_e32 v6, 16, v13
	v_pk_add_f32 v[2:3], v[2:3], v[6:7] op_sel_hi:[0,1]
	v_and_b32_e32 v3, 0x7f800000, v2
	v_cmp_ne_u32_e32 vcc, s65, v3
                                        ; implicit-def: $vgpr6
	s_and_saveexec_b64 s[20:21], vcc
	s_xor_b64 s[20:21], exec, s[20:21]
; %bb.851:                              ;   in Loop: Header=BB4_587 Depth=1
	v_bfe_u32 v3, v2, 16, 1
	v_add3_u32 v6, v2, v3, s66
                                        ; implicit-def: $vgpr2_vgpr3
; %bb.852:                              ;   in Loop: Header=BB4_587 Depth=1
	s_andn2_saveexec_b64 s[20:21], s[20:21]
; %bb.853:                              ;   in Loop: Header=BB4_587 Depth=1
	v_or_b32_e32 v3, 0x10000, v2
	v_cmp_eq_u32_sdwa vcc, v2, v53 src0_sel:WORD_0 src1_sel:DWORD
	v_cndmask_b32_e32 v6, v3, v2, vcc
; %bb.854:                              ;   in Loop: Header=BB4_587 Depth=1
	s_or_b64 exec, exec, s[20:21]
	v_mov_b32_e32 v2, v13
	v_and_b32_e32 v8, 0xffff0000, v17
	v_and_b32_e32 v2, 0xffff0000, v2
	v_pk_add_f32 v[2:3], v[8:9], v[2:3] op_sel_hi:[0,1]
	v_and_b32_e32 v3, 0x7f800000, v2
	v_cmp_ne_u32_e32 vcc, s65, v3
                                        ; implicit-def: $vgpr7
	s_and_saveexec_b64 s[20:21], vcc
	s_xor_b64 s[20:21], exec, s[20:21]
; %bb.855:                              ;   in Loop: Header=BB4_587 Depth=1
	v_bfe_u32 v3, v2, 16, 1
	v_add3_u32 v7, v2, v3, s66
                                        ; implicit-def: $vgpr2_vgpr3
; %bb.856:                              ;   in Loop: Header=BB4_587 Depth=1
	s_andn2_saveexec_b64 s[20:21], s[20:21]
; %bb.857:                              ;   in Loop: Header=BB4_587 Depth=1
	v_or_b32_e32 v3, 0x10000, v2
	v_cmp_eq_u32_sdwa vcc, v2, v53 src0_sel:WORD_0 src1_sel:DWORD
	v_cndmask_b32_e32 v7, v3, v2, vcc
; %bb.858:                              ;   in Loop: Header=BB4_587 Depth=1
	s_or_b64 exec, exec, s[20:21]
	v_lshrrev_b32_e32 v2, 16, v22
	v_and_or_b32 v17, v19, s67, v2
	v_lshrrev_b32_e32 v2, 16, v26
	v_and_or_b32 v16, v18, s67, v2
	;; [unrolled: 2-line block ×5, first 2 shown]
	v_lshrrev_b32_e32 v2, 16, v24
	v_lshrrev_b32_e32 v4, 16, v14
	;; [unrolled: 1-line block ×3, first 2 shown]
	v_and_or_b32 v2, v10, s67, v2
	v_and_or_b32 v4, v12, s67, v4
	;; [unrolled: 1-line block ×3, first 2 shown]
	global_store_dwordx4 v[0:1], v[16:19], off glc slc
	global_store_dwordx4 v[0:1], v[2:5], off offset:1024 glc slc
.LBB4_859:                              ;   in Loop: Header=BB4_587 Depth=1
	s_or_b64 exec, exec, s[18:19]
	v_accvgpr_read_b32 v0, a49
	v_lshlrev_b32_e32 v14, 11, v0
	v_accvgpr_read_b32 v0, a48
	v_cmp_ne_u32_e32 vcc, v0, v14
	s_mov_b64 s[18:19], 0
	v_mov_b32_e32 v19, 0
                                        ; implicit-def: $vgpr20
                                        ; implicit-def: $vgpr0
	s_and_saveexec_b64 s[44:45], vcc
	s_cbranch_execz .LBB4_974
; %bb.860:                              ;   in Loop: Header=BB4_587 Depth=1
	v_lshlrev_b32_e32 v1, 6, v52
	v_sub_u32_e32 v1, v30, v1
	v_ashrrev_i32_e32 v2, 31, v1
	v_lshrrev_b32_e32 v2, 26, v2
	v_add_u32_e32 v2, v1, v2
	v_ashrrev_i32_e32 v3, 6, v2
	v_and_b32_e32 v2, 0xffffffc0, v2
	v_sub_u32_e32 v15, v1, v2
	v_accvgpr_read_b32 v0, a48
	v_lshlrev_b32_e32 v1, 4, v15
	v_sub_u32_e32 v0, v0, v14
	v_lshl_add_u32 v1, v3, 10, v1
	v_add_u32_e32 v10, v1, v14
	v_sub_u32_e32 v19, v0, v1
	v_ashrrev_i32_e32 v1, 31, v0
	v_lshrrev_b32_e32 v1, 22, v1
	v_add_u32_e32 v1, v0, v1
	v_and_b32_e32 v16, 0xfffffc00, v1
	v_sub_u32_e32 v17, v0, v16
	v_ashrrev_i32_e32 v2, 10, v1
	v_cmp_lt_i32_e64 s[18:19], 15, v17
	v_addc_co_u32_e64 v0, vcc, 0, v2, s[18:19]
	v_sub_u32_e32 v18, v0, v3
	v_accvgpr_read_b32 v0, a50
	v_ashrrev_i32_e32 v11, 31, v10
	v_accvgpr_read_b32 v1, a51
	v_add_co_u32_e32 v0, vcc, v10, v0
	v_addc_co_u32_e32 v1, vcc, v11, v1, vcc
	v_cmp_lt_i32_e32 vcc, 15, v19
	s_mov_b64 s[22:23], 0
	s_and_saveexec_b64 s[46:47], vcc
	s_cbranch_execz .LBB4_937
; %bb.861:                              ;   in Loop: Header=BB4_587 Depth=1
	s_trap 2
	ds_read_b128 v[2:5], v0
	s_mov_b64 s[52:53], 0
	s_mov_b64 s[48:49], 0
                                        ; implicit-def: $sgpr50_sgpr51
	s_waitcnt lgkmcnt(0)
	v_add_co_u32_e32 v2, vcc, v2, v10
	v_addc_co_u32_e32 v3, vcc, v3, v11, vcc
	v_add_co_u32_e32 v10, vcc, v4, v10
	v_addc_co_u32_e32 v11, vcc, v5, v11, vcc
	s_branch .LBB4_863
.LBB4_862:                              ;   in Loop: Header=BB4_863 Depth=2
	s_or_b64 exec, exec, s[20:21]
	v_cmp_gt_i32_e32 vcc, 16, v19
	s_or_b64 s[48:49], vcc, s[48:49]
	s_andn2_b64 s[20:21], s[50:51], exec
	s_and_b64 s[22:23], s[52:53], exec
	s_or_b64 s[50:51], s[20:21], s[22:23]
	s_andn2_b64 exec, exec, s[48:49]
	s_cbranch_execz .LBB4_936
.LBB4_863:                              ;   Parent Loop BB4_587 Depth=1
                                        ; =>  This Loop Header: Depth=2
                                        ;       Child Loop BB4_864 Depth 3
                                        ;       Child Loop BB4_901 Depth 3
	v_lshrrev_b32_e64 v4, 6, s33
	v_add_u32_e32 v4, 0xa0, v4
	s_mov_b64 s[54:55], -1
	s_mov_b64 s[56:57], 0
.LBB4_864:                              ;   Parent Loop BB4_587 Depth=1
                                        ;     Parent Loop BB4_863 Depth=2
                                        ; =>    This Inner Loop Header: Depth=3
	s_cmp_eq_u32 s56, 1
	s_cselect_b64 s[20:21], -1, 0
	v_cndmask_b32_e64 v13, v3, v11, s[20:21]
	v_cndmask_b32_e64 v12, v2, v10, s[20:21]
	global_load_dwordx4 v[6:9], v[12:13], off glc slc
	v_add_co_u32_e32 v5, vcc, s62, v12
	s_cmp_eq_u32 s56, 0
	v_addc_co_u32_e32 v12, vcc, 0, v13, vcc
	s_cselect_b64 vcc, -1, 0
	s_and_b64 s[22:23], exec, s[54:55]
	s_mov_b64 s[56:57], 1
	v_cndmask_b32_e64 v10, v10, v5, s[20:21]
	s_mov_b64 s[54:55], 0
	v_cndmask_b32_e32 v3, v3, v12, vcc
	v_cndmask_b32_e32 v2, v2, v5, vcc
	v_cndmask_b32_e64 v11, v11, v12, s[20:21]
	s_mov_b64 vcc, s[22:23]
	s_waitcnt vmcnt(0)
	buffer_store_dword v7, v4, s[0:3], 0 offen offset:4
	buffer_store_dword v6, v4, s[0:3], 0 offen
	buffer_store_dword v9, v4, s[0:3], 0 offen offset:12
	buffer_store_dword v8, v4, s[0:3], 0 offen offset:8
	v_mov_b32_e32 v4, v56
	s_cbranch_vccnz .LBB4_864
; %bb.865:                              ;   in Loop: Header=BB4_863 Depth=2
	s_and_saveexec_b64 s[20:21], s[52:53]
	s_cbranch_execz .LBB4_899
; %bb.866:                              ;   in Loop: Header=BB4_863 Depth=2
	buffer_load_dword v6, off, s[0:3], s33 offset:208
	buffer_load_dword v5, off, s[0:3], s33 offset:192
	buffer_load_dword v25, off, s[0:3], s33 offset:196
	buffer_load_dword v23, off, s[0:3], s33 offset:200
	buffer_load_dword v20, off, s[0:3], s33 offset:204
	buffer_load_dword v26, off, s[0:3], s33 offset:212
	buffer_load_dword v24, off, s[0:3], s33 offset:216
	buffer_load_dword v21, off, s[0:3], s33 offset:220
	s_waitcnt vmcnt(7)
	v_lshlrev_b32_e32 v4, 16, v6
	s_waitcnt vmcnt(6)
	v_lshlrev_b32_e32 v8, 16, v5
	v_pk_add_f32 v[12:13], v[4:5], v[8:9] op_sel_hi:[0,1]
	v_and_b32_e32 v4, 0x7f800000, v12
	v_cmp_ne_u32_e32 vcc, s65, v4
                                        ; implicit-def: $vgpr4
	s_and_saveexec_b64 s[22:23], vcc
	s_xor_b64 s[22:23], exec, s[22:23]
; %bb.867:                              ;   in Loop: Header=BB4_863 Depth=2
	v_bfe_u32 v4, v12, 16, 1
	v_add3_u32 v4, v12, v4, s66
                                        ; implicit-def: $vgpr12_vgpr13
; %bb.868:                              ;   in Loop: Header=BB4_863 Depth=2
	s_andn2_saveexec_b64 s[22:23], s[22:23]
; %bb.869:                              ;   in Loop: Header=BB4_863 Depth=2
	v_or_b32_e32 v4, 0x10000, v12
	v_cmp_eq_u32_sdwa vcc, v12, v53 src0_sel:WORD_0 src1_sel:DWORD
	v_cndmask_b32_e32 v4, v4, v12, vcc
; %bb.870:                              ;   in Loop: Header=BB4_863 Depth=2
	s_or_b64 exec, exec, s[22:23]
	v_and_b32_e32 v6, 0xffff0000, v6
	v_and_b32_e32 v8, 0xffff0000, v5
	v_pk_add_f32 v[12:13], v[6:7], v[8:9] op_sel_hi:[0,1]
	v_and_b32_e32 v5, 0x7f800000, v12
	v_cmp_ne_u32_e32 vcc, s65, v5
                                        ; implicit-def: $vgpr22
	s_and_saveexec_b64 s[22:23], vcc
	s_xor_b64 s[22:23], exec, s[22:23]
; %bb.871:                              ;   in Loop: Header=BB4_863 Depth=2
	v_bfe_u32 v5, v12, 16, 1
	v_add3_u32 v22, v12, v5, s66
                                        ; implicit-def: $vgpr12_vgpr13
; %bb.872:                              ;   in Loop: Header=BB4_863 Depth=2
	s_andn2_saveexec_b64 s[22:23], s[22:23]
; %bb.873:                              ;   in Loop: Header=BB4_863 Depth=2
	v_or_b32_e32 v5, 0x10000, v12
	v_cmp_eq_u32_sdwa vcc, v12, v53 src0_sel:WORD_0 src1_sel:DWORD
	v_cndmask_b32_e32 v22, v5, v12, vcc
; %bb.874:                              ;   in Loop: Header=BB4_863 Depth=2
	s_or_b64 exec, exec, s[22:23]
	s_waitcnt vmcnt(2)
	v_lshlrev_b32_e32 v6, 16, v26
	v_lshlrev_b32_e32 v8, 16, v25
	v_pk_add_f32 v[12:13], v[6:7], v[8:9] op_sel_hi:[0,1]
	v_and_b32_e32 v5, 0x7f800000, v12
	v_cmp_ne_u32_e32 vcc, s65, v5
                                        ; implicit-def: $vgpr5
	s_and_saveexec_b64 s[22:23], vcc
	s_xor_b64 s[22:23], exec, s[22:23]
; %bb.875:                              ;   in Loop: Header=BB4_863 Depth=2
	v_bfe_u32 v5, v12, 16, 1
	v_add3_u32 v5, v12, v5, s66
                                        ; implicit-def: $vgpr12_vgpr13
; %bb.876:                              ;   in Loop: Header=BB4_863 Depth=2
	s_andn2_saveexec_b64 s[22:23], s[22:23]
; %bb.877:                              ;   in Loop: Header=BB4_863 Depth=2
	v_or_b32_e32 v5, 0x10000, v12
	v_cmp_eq_u32_sdwa vcc, v12, v53 src0_sel:WORD_0 src1_sel:DWORD
	v_cndmask_b32_e32 v5, v5, v12, vcc
; %bb.878:                              ;   in Loop: Header=BB4_863 Depth=2
	s_or_b64 exec, exec, s[22:23]
	v_and_b32_e32 v6, 0xffff0000, v26
	v_and_b32_e32 v8, 0xffff0000, v25
	v_pk_add_f32 v[12:13], v[6:7], v[8:9] op_sel_hi:[0,1]
	v_and_b32_e32 v6, 0x7f800000, v12
	v_cmp_ne_u32_e32 vcc, s65, v6
                                        ; implicit-def: $vgpr25
	s_and_saveexec_b64 s[22:23], vcc
	s_xor_b64 s[22:23], exec, s[22:23]
; %bb.879:                              ;   in Loop: Header=BB4_863 Depth=2
	v_bfe_u32 v6, v12, 16, 1
	v_add3_u32 v25, v12, v6, s66
                                        ; implicit-def: $vgpr12_vgpr13
; %bb.880:                              ;   in Loop: Header=BB4_863 Depth=2
	s_andn2_saveexec_b64 s[22:23], s[22:23]
; %bb.881:                              ;   in Loop: Header=BB4_863 Depth=2
	v_or_b32_e32 v6, 0x10000, v12
	v_cmp_eq_u32_sdwa vcc, v12, v53 src0_sel:WORD_0 src1_sel:DWORD
	v_cndmask_b32_e32 v25, v6, v12, vcc
; %bb.882:                              ;   in Loop: Header=BB4_863 Depth=2
	s_or_b64 exec, exec, s[22:23]
	s_waitcnt vmcnt(1)
	v_lshlrev_b32_e32 v6, 16, v24
	v_lshlrev_b32_e32 v8, 16, v23
	v_pk_add_f32 v[12:13], v[6:7], v[8:9] op_sel_hi:[0,1]
	v_and_b32_e32 v6, 0x7f800000, v12
	v_cmp_ne_u32_e32 vcc, s65, v6
                                        ; implicit-def: $vgpr26
	s_and_saveexec_b64 s[22:23], vcc
	s_xor_b64 s[22:23], exec, s[22:23]
; %bb.883:                              ;   in Loop: Header=BB4_863 Depth=2
	v_bfe_u32 v6, v12, 16, 1
	v_add3_u32 v26, v12, v6, s66
                                        ; implicit-def: $vgpr12_vgpr13
; %bb.884:                              ;   in Loop: Header=BB4_863 Depth=2
	s_andn2_saveexec_b64 s[22:23], s[22:23]
; %bb.885:                              ;   in Loop: Header=BB4_863 Depth=2
	v_or_b32_e32 v6, 0x10000, v12
	v_cmp_eq_u32_sdwa vcc, v12, v53 src0_sel:WORD_0 src1_sel:DWORD
	v_cndmask_b32_e32 v26, v6, v12, vcc
; %bb.886:                              ;   in Loop: Header=BB4_863 Depth=2
	s_or_b64 exec, exec, s[22:23]
	v_and_b32_e32 v6, 0xffff0000, v24
	v_and_b32_e32 v8, 0xffff0000, v23
	v_pk_add_f32 v[12:13], v[6:7], v[8:9] op_sel_hi:[0,1]
	v_and_b32_e32 v6, 0x7f800000, v12
	v_cmp_ne_u32_e32 vcc, s65, v6
                                        ; implicit-def: $vgpr23
	s_and_saveexec_b64 s[22:23], vcc
	s_xor_b64 s[22:23], exec, s[22:23]
; %bb.887:                              ;   in Loop: Header=BB4_863 Depth=2
	v_bfe_u32 v6, v12, 16, 1
	v_add3_u32 v23, v12, v6, s66
                                        ; implicit-def: $vgpr12_vgpr13
; %bb.888:                              ;   in Loop: Header=BB4_863 Depth=2
	s_andn2_saveexec_b64 s[22:23], s[22:23]
; %bb.889:                              ;   in Loop: Header=BB4_863 Depth=2
	v_or_b32_e32 v6, 0x10000, v12
	v_cmp_eq_u32_sdwa vcc, v12, v53 src0_sel:WORD_0 src1_sel:DWORD
	v_cndmask_b32_e32 v23, v6, v12, vcc
; %bb.890:                              ;   in Loop: Header=BB4_863 Depth=2
	s_or_b64 exec, exec, s[22:23]
	s_waitcnt vmcnt(0)
	v_lshlrev_b32_e32 v6, 16, v21
	v_lshlrev_b32_e32 v8, 16, v20
	v_pk_add_f32 v[12:13], v[6:7], v[8:9] op_sel_hi:[0,1]
	v_and_b32_e32 v6, 0x7f800000, v12
	v_cmp_ne_u32_e32 vcc, s65, v6
                                        ; implicit-def: $vgpr6
	s_and_saveexec_b64 s[22:23], vcc
	s_xor_b64 s[22:23], exec, s[22:23]
; %bb.891:                              ;   in Loop: Header=BB4_863 Depth=2
	v_bfe_u32 v6, v12, 16, 1
	v_add3_u32 v6, v12, v6, s66
                                        ; implicit-def: $vgpr12_vgpr13
; %bb.892:                              ;   in Loop: Header=BB4_863 Depth=2
	s_andn2_saveexec_b64 s[22:23], s[22:23]
; %bb.893:                              ;   in Loop: Header=BB4_863 Depth=2
	v_or_b32_e32 v6, 0x10000, v12
	v_cmp_eq_u32_sdwa vcc, v12, v53 src0_sel:WORD_0 src1_sel:DWORD
	v_cndmask_b32_e32 v6, v6, v12, vcc
; %bb.894:                              ;   in Loop: Header=BB4_863 Depth=2
	s_or_b64 exec, exec, s[22:23]
	v_and_b32_e32 v8, 0xffff0000, v21
	v_and_b32_e32 v12, 0xffff0000, v20
	v_pk_add_f32 v[12:13], v[8:9], v[12:13] op_sel_hi:[0,1]
	v_and_b32_e32 v7, 0x7f800000, v12
	v_cmp_ne_u32_e32 vcc, s65, v7
                                        ; implicit-def: $vgpr7
	s_and_saveexec_b64 s[22:23], vcc
	s_xor_b64 s[22:23], exec, s[22:23]
; %bb.895:                              ;   in Loop: Header=BB4_863 Depth=2
	v_bfe_u32 v7, v12, 16, 1
	v_add3_u32 v7, v12, v7, s66
                                        ; implicit-def: $vgpr12_vgpr13
; %bb.896:                              ;   in Loop: Header=BB4_863 Depth=2
	s_andn2_saveexec_b64 s[22:23], s[22:23]
; %bb.897:                              ;   in Loop: Header=BB4_863 Depth=2
	v_or_b32_e32 v7, 0x10000, v12
	v_cmp_eq_u32_sdwa vcc, v12, v53 src0_sel:WORD_0 src1_sel:DWORD
	v_cndmask_b32_e32 v7, v7, v12, vcc
; %bb.898:                              ;   in Loop: Header=BB4_863 Depth=2
	s_or_b64 exec, exec, s[22:23]
	v_lshrrev_b32_e32 v4, 16, v4
	v_and_or_b32 v20, v22, s67, v4
	v_lshrrev_b32_e32 v4, 16, v26
	v_lshrrev_b32_e32 v5, 16, v5
	v_and_or_b32 v22, v23, s67, v4
	v_lshrrev_b32_e32 v4, 16, v6
	v_and_or_b32 v21, v25, s67, v5
	v_and_or_b32 v23, v7, s67, v4
	buffer_store_dword v21, off, s[0:3], s33 offset:196
	buffer_store_dword v20, off, s[0:3], s33 offset:192
	;; [unrolled: 1-line block ×4, first 2 shown]
	global_store_dwordx4 v[0:1], v[20:23], off glc slc
	v_add_co_u32_e32 v0, vcc, v38, v0
	v_addc_co_u32_e32 v1, vcc, v39, v1, vcc
.LBB4_899:                              ;   in Loop: Header=BB4_863 Depth=2
	s_or_b64 exec, exec, s[20:21]
	v_add_co_u32_e32 v2, vcc, v2, v36
	v_addc_co_u32_e32 v3, vcc, v3, v37, vcc
	v_add_co_u32_e32 v10, vcc, v10, v36
	v_sub_u32_e32 v19, v19, v35
	v_addc_co_u32_e32 v11, vcc, v11, v37, vcc
	v_cmp_lt_i32_e64 s[52:53], 15, v19
	s_and_saveexec_b64 s[54:55], s[52:53]
	s_cbranch_execz .LBB4_902
; %bb.900:                              ;   in Loop: Header=BB4_863 Depth=2
	v_lshrrev_b32_e64 v4, 6, s33
	v_add_u32_e32 v4, 0xc0, v4
	s_mov_b64 s[58:59], 0
	s_mov_b64 s[56:57], -1
.LBB4_901:                              ;   Parent Loop BB4_587 Depth=1
                                        ;     Parent Loop BB4_863 Depth=2
                                        ; =>    This Inner Loop Header: Depth=3
	s_cmp_eq_u32 s58, 1
	s_cselect_b64 s[20:21], -1, 0
	v_cndmask_b32_e64 v13, v3, v11, s[20:21]
	v_cndmask_b32_e64 v12, v2, v10, s[20:21]
	global_load_dwordx4 v[6:9], v[12:13], off glc slc
	v_add_co_u32_e32 v5, vcc, s62, v12
	s_cmp_eq_u32 s58, 0
	v_addc_co_u32_e32 v12, vcc, 0, v13, vcc
	s_cselect_b64 vcc, -1, 0
	s_and_b64 s[22:23], exec, s[56:57]
	s_mov_b64 s[58:59], 1
	v_cndmask_b32_e64 v10, v10, v5, s[20:21]
	s_mov_b64 s[56:57], 0
	v_cndmask_b32_e32 v3, v3, v12, vcc
	v_cndmask_b32_e32 v2, v2, v5, vcc
	v_cndmask_b32_e64 v11, v11, v12, s[20:21]
	s_mov_b64 vcc, s[22:23]
	s_waitcnt vmcnt(0)
	buffer_store_dword v7, v4, s[0:3], 0 offen offset:4
	buffer_store_dword v6, v4, s[0:3], 0 offen
	buffer_store_dword v9, v4, s[0:3], 0 offen offset:12
	buffer_store_dword v8, v4, s[0:3], 0 offen offset:8
	v_mov_b32_e32 v4, v34
	s_cbranch_vccnz .LBB4_901
.LBB4_902:                              ;   in Loop: Header=BB4_863 Depth=2
	s_or_b64 exec, exec, s[54:55]
	buffer_load_dword v6, off, s[0:3], s33 offset:176
	buffer_load_dword v5, off, s[0:3], s33 offset:160
	;; [unrolled: 1-line block ×8, first 2 shown]
	s_waitcnt vmcnt(7)
	v_lshlrev_b32_e32 v4, 16, v6
	s_waitcnt vmcnt(6)
	v_lshlrev_b32_e32 v8, 16, v5
	v_pk_add_f32 v[12:13], v[4:5], v[8:9] op_sel_hi:[0,1]
	v_and_b32_e32 v4, 0x7f800000, v12
	v_cmp_ne_u32_e32 vcc, s65, v4
                                        ; implicit-def: $vgpr4
	s_and_saveexec_b64 s[20:21], vcc
	s_xor_b64 s[20:21], exec, s[20:21]
; %bb.903:                              ;   in Loop: Header=BB4_863 Depth=2
	v_bfe_u32 v4, v12, 16, 1
	v_add3_u32 v4, v12, v4, s66
                                        ; implicit-def: $vgpr12_vgpr13
; %bb.904:                              ;   in Loop: Header=BB4_863 Depth=2
	s_andn2_saveexec_b64 s[20:21], s[20:21]
; %bb.905:                              ;   in Loop: Header=BB4_863 Depth=2
	v_or_b32_e32 v4, 0x10000, v12
	v_cmp_eq_u32_sdwa vcc, v12, v53 src0_sel:WORD_0 src1_sel:DWORD
	v_cndmask_b32_e32 v4, v4, v12, vcc
; %bb.906:                              ;   in Loop: Header=BB4_863 Depth=2
	s_or_b64 exec, exec, s[20:21]
	v_and_b32_e32 v6, 0xffff0000, v6
	v_and_b32_e32 v8, 0xffff0000, v5
	v_pk_add_f32 v[12:13], v[6:7], v[8:9] op_sel_hi:[0,1]
	v_and_b32_e32 v5, 0x7f800000, v12
	v_cmp_ne_u32_e32 vcc, s65, v5
                                        ; implicit-def: $vgpr22
	s_and_saveexec_b64 s[20:21], vcc
	s_xor_b64 s[20:21], exec, s[20:21]
; %bb.907:                              ;   in Loop: Header=BB4_863 Depth=2
	v_bfe_u32 v5, v12, 16, 1
	v_add3_u32 v22, v12, v5, s66
                                        ; implicit-def: $vgpr12_vgpr13
; %bb.908:                              ;   in Loop: Header=BB4_863 Depth=2
	s_andn2_saveexec_b64 s[20:21], s[20:21]
; %bb.909:                              ;   in Loop: Header=BB4_863 Depth=2
	v_or_b32_e32 v5, 0x10000, v12
	v_cmp_eq_u32_sdwa vcc, v12, v53 src0_sel:WORD_0 src1_sel:DWORD
	v_cndmask_b32_e32 v22, v5, v12, vcc
; %bb.910:                              ;   in Loop: Header=BB4_863 Depth=2
	s_or_b64 exec, exec, s[20:21]
	s_waitcnt vmcnt(2)
	v_lshlrev_b32_e32 v6, 16, v26
	v_lshlrev_b32_e32 v8, 16, v25
	v_pk_add_f32 v[12:13], v[6:7], v[8:9] op_sel_hi:[0,1]
	v_and_b32_e32 v5, 0x7f800000, v12
	v_cmp_ne_u32_e32 vcc, s65, v5
                                        ; implicit-def: $vgpr5
	s_and_saveexec_b64 s[20:21], vcc
	s_xor_b64 s[20:21], exec, s[20:21]
; %bb.911:                              ;   in Loop: Header=BB4_863 Depth=2
	v_bfe_u32 v5, v12, 16, 1
	v_add3_u32 v5, v12, v5, s66
                                        ; implicit-def: $vgpr12_vgpr13
; %bb.912:                              ;   in Loop: Header=BB4_863 Depth=2
	s_andn2_saveexec_b64 s[20:21], s[20:21]
; %bb.913:                              ;   in Loop: Header=BB4_863 Depth=2
	v_or_b32_e32 v5, 0x10000, v12
	v_cmp_eq_u32_sdwa vcc, v12, v53 src0_sel:WORD_0 src1_sel:DWORD
	v_cndmask_b32_e32 v5, v5, v12, vcc
; %bb.914:                              ;   in Loop: Header=BB4_863 Depth=2
	s_or_b64 exec, exec, s[20:21]
	v_and_b32_e32 v6, 0xffff0000, v26
	v_and_b32_e32 v8, 0xffff0000, v25
	v_pk_add_f32 v[12:13], v[6:7], v[8:9] op_sel_hi:[0,1]
	v_and_b32_e32 v6, 0x7f800000, v12
	v_cmp_ne_u32_e32 vcc, s65, v6
                                        ; implicit-def: $vgpr25
	s_and_saveexec_b64 s[20:21], vcc
	s_xor_b64 s[20:21], exec, s[20:21]
; %bb.915:                              ;   in Loop: Header=BB4_863 Depth=2
	v_bfe_u32 v6, v12, 16, 1
	v_add3_u32 v25, v12, v6, s66
                                        ; implicit-def: $vgpr12_vgpr13
; %bb.916:                              ;   in Loop: Header=BB4_863 Depth=2
	s_andn2_saveexec_b64 s[20:21], s[20:21]
; %bb.917:                              ;   in Loop: Header=BB4_863 Depth=2
	v_or_b32_e32 v6, 0x10000, v12
	v_cmp_eq_u32_sdwa vcc, v12, v53 src0_sel:WORD_0 src1_sel:DWORD
	v_cndmask_b32_e32 v25, v6, v12, vcc
; %bb.918:                              ;   in Loop: Header=BB4_863 Depth=2
	s_or_b64 exec, exec, s[20:21]
	s_waitcnt vmcnt(1)
	v_lshlrev_b32_e32 v6, 16, v24
	v_lshlrev_b32_e32 v8, 16, v23
	v_pk_add_f32 v[12:13], v[6:7], v[8:9] op_sel_hi:[0,1]
	v_and_b32_e32 v6, 0x7f800000, v12
	v_cmp_ne_u32_e32 vcc, s65, v6
                                        ; implicit-def: $vgpr26
	s_and_saveexec_b64 s[20:21], vcc
	s_xor_b64 s[20:21], exec, s[20:21]
; %bb.919:                              ;   in Loop: Header=BB4_863 Depth=2
	v_bfe_u32 v6, v12, 16, 1
	v_add3_u32 v26, v12, v6, s66
                                        ; implicit-def: $vgpr12_vgpr13
; %bb.920:                              ;   in Loop: Header=BB4_863 Depth=2
	s_andn2_saveexec_b64 s[20:21], s[20:21]
; %bb.921:                              ;   in Loop: Header=BB4_863 Depth=2
	v_or_b32_e32 v6, 0x10000, v12
	v_cmp_eq_u32_sdwa vcc, v12, v53 src0_sel:WORD_0 src1_sel:DWORD
	v_cndmask_b32_e32 v26, v6, v12, vcc
; %bb.922:                              ;   in Loop: Header=BB4_863 Depth=2
	s_or_b64 exec, exec, s[20:21]
	v_and_b32_e32 v6, 0xffff0000, v24
	v_and_b32_e32 v8, 0xffff0000, v23
	v_pk_add_f32 v[12:13], v[6:7], v[8:9] op_sel_hi:[0,1]
	v_and_b32_e32 v6, 0x7f800000, v12
	v_cmp_ne_u32_e32 vcc, s65, v6
                                        ; implicit-def: $vgpr23
	s_and_saveexec_b64 s[20:21], vcc
	s_xor_b64 s[20:21], exec, s[20:21]
; %bb.923:                              ;   in Loop: Header=BB4_863 Depth=2
	v_bfe_u32 v6, v12, 16, 1
	v_add3_u32 v23, v12, v6, s66
                                        ; implicit-def: $vgpr12_vgpr13
; %bb.924:                              ;   in Loop: Header=BB4_863 Depth=2
	s_andn2_saveexec_b64 s[20:21], s[20:21]
; %bb.925:                              ;   in Loop: Header=BB4_863 Depth=2
	v_or_b32_e32 v6, 0x10000, v12
	v_cmp_eq_u32_sdwa vcc, v12, v53 src0_sel:WORD_0 src1_sel:DWORD
	v_cndmask_b32_e32 v23, v6, v12, vcc
; %bb.926:                              ;   in Loop: Header=BB4_863 Depth=2
	s_or_b64 exec, exec, s[20:21]
	s_waitcnt vmcnt(0)
	v_lshlrev_b32_e32 v6, 16, v21
	v_lshlrev_b32_e32 v8, 16, v20
	v_pk_add_f32 v[12:13], v[6:7], v[8:9] op_sel_hi:[0,1]
	v_and_b32_e32 v6, 0x7f800000, v12
	v_cmp_ne_u32_e32 vcc, s65, v6
                                        ; implicit-def: $vgpr6
	s_and_saveexec_b64 s[20:21], vcc
	s_xor_b64 s[20:21], exec, s[20:21]
; %bb.927:                              ;   in Loop: Header=BB4_863 Depth=2
	v_bfe_u32 v6, v12, 16, 1
	v_add3_u32 v6, v12, v6, s66
                                        ; implicit-def: $vgpr12_vgpr13
; %bb.928:                              ;   in Loop: Header=BB4_863 Depth=2
	s_andn2_saveexec_b64 s[20:21], s[20:21]
; %bb.929:                              ;   in Loop: Header=BB4_863 Depth=2
	v_or_b32_e32 v6, 0x10000, v12
	v_cmp_eq_u32_sdwa vcc, v12, v53 src0_sel:WORD_0 src1_sel:DWORD
	v_cndmask_b32_e32 v6, v6, v12, vcc
; %bb.930:                              ;   in Loop: Header=BB4_863 Depth=2
	s_or_b64 exec, exec, s[20:21]
	v_and_b32_e32 v8, 0xffff0000, v21
	v_and_b32_e32 v12, 0xffff0000, v20
	v_pk_add_f32 v[12:13], v[8:9], v[12:13] op_sel_hi:[0,1]
	v_and_b32_e32 v7, 0x7f800000, v12
	v_cmp_ne_u32_e32 vcc, s65, v7
                                        ; implicit-def: $vgpr7
	s_and_saveexec_b64 s[20:21], vcc
	s_xor_b64 s[20:21], exec, s[20:21]
; %bb.931:                              ;   in Loop: Header=BB4_863 Depth=2
	v_bfe_u32 v7, v12, 16, 1
	v_add3_u32 v7, v12, v7, s66
                                        ; implicit-def: $vgpr12_vgpr13
; %bb.932:                              ;   in Loop: Header=BB4_863 Depth=2
	s_andn2_saveexec_b64 s[20:21], s[20:21]
; %bb.933:                              ;   in Loop: Header=BB4_863 Depth=2
	v_or_b32_e32 v7, 0x10000, v12
	v_cmp_eq_u32_sdwa vcc, v12, v53 src0_sel:WORD_0 src1_sel:DWORD
	v_cndmask_b32_e32 v7, v7, v12, vcc
; %bb.934:                              ;   in Loop: Header=BB4_863 Depth=2
	s_or_b64 exec, exec, s[20:21]
	v_lshrrev_b32_e32 v4, 16, v4
	v_and_or_b32 v20, v22, s67, v4
	v_lshrrev_b32_e32 v4, 16, v26
	v_lshrrev_b32_e32 v5, 16, v5
	v_and_or_b32 v22, v23, s67, v4
	v_lshrrev_b32_e32 v4, 16, v6
	v_and_or_b32 v21, v25, s67, v5
	v_and_or_b32 v23, v7, s67, v4
	buffer_store_dword v21, off, s[0:3], s33 offset:164
	buffer_store_dword v20, off, s[0:3], s33 offset:160
	;; [unrolled: 1-line block ×4, first 2 shown]
	global_store_dwordx4 v[0:1], v[20:23], off glc slc
	v_add_co_u32_e32 v0, vcc, 0x400, v0
	v_sub_u32_e32 v18, v18, v28
	v_addc_co_u32_e32 v1, vcc, 0, v1, vcc
	s_and_saveexec_b64 s[20:21], s[52:53]
	s_cbranch_execz .LBB4_862
; %bb.935:                              ;   in Loop: Header=BB4_863 Depth=2
	v_add_co_u32_e32 v2, vcc, v2, v36
	v_addc_co_u32_e32 v3, vcc, v3, v37, vcc
	v_add_co_u32_e32 v10, vcc, v10, v36
	v_addc_co_u32_e32 v11, vcc, v11, v37, vcc
	;; [unrolled: 2-line block ×3, first 2 shown]
	v_sub_u32_e32 v19, v19, v35
	v_sub_u32_e32 v18, v18, v28
	s_branch .LBB4_862
.LBB4_936:                              ;   in Loop: Header=BB4_587 Depth=1
	s_or_b64 exec, exec, s[48:49]
	s_and_b64 s[22:23], s[50:51], exec
.LBB4_937:                              ;   in Loop: Header=BB4_587 Depth=1
	s_or_b64 exec, exec, s[46:47]
	s_mov_b64 s[20:21], exec
	s_and_b64 s[22:23], s[20:21], s[22:23]
	v_accvgpr_read_b32 v9, a48
	s_mov_b64 exec, s[22:23]
	s_cbranch_execz .LBB4_971
; %bb.938:                              ;   in Loop: Header=BB4_587 Depth=1
	buffer_load_dword v6, off, s[0:3], s33 offset:208
	buffer_load_dword v5, off, s[0:3], s33 offset:192
	;; [unrolled: 1-line block ×8, first 2 shown]
	s_waitcnt vmcnt(0)
	v_lshlrev_b32_e32 v2, 16, v6
	v_lshlrev_b32_e32 v4, 16, v5
	v_pk_add_f32 v[2:3], v[2:3], v[4:5] op_sel_hi:[0,1]
	v_and_b32_e32 v3, 0x7f800000, v2
	v_cmp_ne_u32_e32 vcc, s65, v3
                                        ; implicit-def: $vgpr4
	s_and_saveexec_b64 s[22:23], vcc
	s_xor_b64 s[22:23], exec, s[22:23]
; %bb.939:                              ;   in Loop: Header=BB4_587 Depth=1
	v_bfe_u32 v3, v2, 16, 1
	v_add3_u32 v4, v2, v3, s66
                                        ; implicit-def: $vgpr2_vgpr3
; %bb.940:                              ;   in Loop: Header=BB4_587 Depth=1
	s_andn2_saveexec_b64 s[22:23], s[22:23]
; %bb.941:                              ;   in Loop: Header=BB4_587 Depth=1
	v_or_b32_e32 v3, 0x10000, v2
	v_cmp_eq_u32_sdwa vcc, v2, v53 src0_sel:WORD_0 src1_sel:DWORD
	v_cndmask_b32_e32 v4, v3, v2, vcc
; %bb.942:                              ;   in Loop: Header=BB4_587 Depth=1
	s_or_b64 exec, exec, s[22:23]
	v_and_b32_e32 v2, 0xffff0000, v6
	v_and_b32_e32 v6, 0xffff0000, v5
	v_pk_add_f32 v[2:3], v[2:3], v[6:7] op_sel_hi:[0,1]
	v_and_b32_e32 v3, 0x7f800000, v2
	v_cmp_ne_u32_e32 vcc, s65, v3
                                        ; implicit-def: $vgpr12
	s_and_saveexec_b64 s[22:23], vcc
	s_xor_b64 s[22:23], exec, s[22:23]
; %bb.943:                              ;   in Loop: Header=BB4_587 Depth=1
	v_bfe_u32 v3, v2, 16, 1
	v_add3_u32 v12, v2, v3, s66
                                        ; implicit-def: $vgpr2_vgpr3
; %bb.944:                              ;   in Loop: Header=BB4_587 Depth=1
	s_andn2_saveexec_b64 s[22:23], s[22:23]
; %bb.945:                              ;   in Loop: Header=BB4_587 Depth=1
	v_or_b32_e32 v3, 0x10000, v2
	v_cmp_eq_u32_sdwa vcc, v2, v53 src0_sel:WORD_0 src1_sel:DWORD
	v_cndmask_b32_e32 v12, v3, v2, vcc
; %bb.946:                              ;   in Loop: Header=BB4_587 Depth=1
	s_or_b64 exec, exec, s[22:23]
	v_lshlrev_b32_e32 v2, 16, v21
	v_lshlrev_b32_e32 v6, 16, v20
	v_pk_add_f32 v[2:3], v[2:3], v[6:7] op_sel_hi:[0,1]
	v_and_b32_e32 v3, 0x7f800000, v2
	v_cmp_ne_u32_e32 vcc, s65, v3
                                        ; implicit-def: $vgpr5
	s_and_saveexec_b64 s[22:23], vcc
	s_xor_b64 s[22:23], exec, s[22:23]
; %bb.947:                              ;   in Loop: Header=BB4_587 Depth=1
	v_bfe_u32 v3, v2, 16, 1
	v_add3_u32 v5, v2, v3, s66
                                        ; implicit-def: $vgpr2_vgpr3
; %bb.948:                              ;   in Loop: Header=BB4_587 Depth=1
	s_andn2_saveexec_b64 s[22:23], s[22:23]
; %bb.949:                              ;   in Loop: Header=BB4_587 Depth=1
	v_or_b32_e32 v3, 0x10000, v2
	v_cmp_eq_u32_sdwa vcc, v2, v53 src0_sel:WORD_0 src1_sel:DWORD
	v_cndmask_b32_e32 v5, v3, v2, vcc
; %bb.950:                              ;   in Loop: Header=BB4_587 Depth=1
	s_or_b64 exec, exec, s[22:23]
	v_and_b32_e32 v2, 0xffff0000, v21
	v_and_b32_e32 v6, 0xffff0000, v20
	v_pk_add_f32 v[2:3], v[2:3], v[6:7] op_sel_hi:[0,1]
	v_and_b32_e32 v3, 0x7f800000, v2
	v_cmp_ne_u32_e32 vcc, s65, v3
                                        ; implicit-def: $vgpr20
	s_and_saveexec_b64 s[22:23], vcc
	s_xor_b64 s[22:23], exec, s[22:23]
; %bb.951:                              ;   in Loop: Header=BB4_587 Depth=1
	v_bfe_u32 v3, v2, 16, 1
	v_add3_u32 v20, v2, v3, s66
                                        ; implicit-def: $vgpr2_vgpr3
; %bb.952:                              ;   in Loop: Header=BB4_587 Depth=1
	s_andn2_saveexec_b64 s[22:23], s[22:23]
; %bb.953:                              ;   in Loop: Header=BB4_587 Depth=1
	v_or_b32_e32 v3, 0x10000, v2
	v_cmp_eq_u32_sdwa vcc, v2, v53 src0_sel:WORD_0 src1_sel:DWORD
	v_cndmask_b32_e32 v20, v3, v2, vcc
; %bb.954:                              ;   in Loop: Header=BB4_587 Depth=1
	s_or_b64 exec, exec, s[22:23]
	v_lshlrev_b32_e32 v2, 16, v19
	v_lshlrev_b32_e32 v6, 16, v13
	v_pk_add_f32 v[2:3], v[2:3], v[6:7] op_sel_hi:[0,1]
	v_and_b32_e32 v3, 0x7f800000, v2
	v_cmp_ne_u32_e32 vcc, s65, v3
                                        ; implicit-def: $vgpr21
	s_and_saveexec_b64 s[22:23], vcc
	s_xor_b64 s[22:23], exec, s[22:23]
; %bb.955:                              ;   in Loop: Header=BB4_587 Depth=1
	v_bfe_u32 v3, v2, 16, 1
	v_add3_u32 v21, v2, v3, s66
                                        ; implicit-def: $vgpr2_vgpr3
; %bb.956:                              ;   in Loop: Header=BB4_587 Depth=1
	s_andn2_saveexec_b64 s[22:23], s[22:23]
; %bb.957:                              ;   in Loop: Header=BB4_587 Depth=1
	v_or_b32_e32 v3, 0x10000, v2
	v_cmp_eq_u32_sdwa vcc, v2, v53 src0_sel:WORD_0 src1_sel:DWORD
	v_cndmask_b32_e32 v21, v3, v2, vcc
; %bb.958:                              ;   in Loop: Header=BB4_587 Depth=1
	s_or_b64 exec, exec, s[22:23]
	v_and_b32_e32 v2, 0xffff0000, v19
	v_and_b32_e32 v6, 0xffff0000, v13
	v_pk_add_f32 v[2:3], v[2:3], v[6:7] op_sel_hi:[0,1]
	v_and_b32_e32 v3, 0x7f800000, v2
	v_cmp_ne_u32_e32 vcc, s65, v3
                                        ; implicit-def: $vgpr13
	s_and_saveexec_b64 s[22:23], vcc
	s_xor_b64 s[22:23], exec, s[22:23]
; %bb.959:                              ;   in Loop: Header=BB4_587 Depth=1
	v_bfe_u32 v3, v2, 16, 1
	v_add3_u32 v13, v2, v3, s66
                                        ; implicit-def: $vgpr2_vgpr3
; %bb.960:                              ;   in Loop: Header=BB4_587 Depth=1
	s_andn2_saveexec_b64 s[22:23], s[22:23]
; %bb.961:                              ;   in Loop: Header=BB4_587 Depth=1
	v_or_b32_e32 v3, 0x10000, v2
	v_cmp_eq_u32_sdwa vcc, v2, v53 src0_sel:WORD_0 src1_sel:DWORD
	v_cndmask_b32_e32 v13, v3, v2, vcc
; %bb.962:                              ;   in Loop: Header=BB4_587 Depth=1
	s_or_b64 exec, exec, s[22:23]
	v_lshlrev_b32_e32 v2, 16, v11
	v_lshlrev_b32_e32 v6, 16, v10
	v_pk_add_f32 v[2:3], v[2:3], v[6:7] op_sel_hi:[0,1]
	v_and_b32_e32 v3, 0x7f800000, v2
	v_cmp_ne_u32_e32 vcc, s65, v3
                                        ; implicit-def: $vgpr6
	s_and_saveexec_b64 s[22:23], vcc
	s_xor_b64 s[22:23], exec, s[22:23]
; %bb.963:                              ;   in Loop: Header=BB4_587 Depth=1
	v_bfe_u32 v3, v2, 16, 1
	v_add3_u32 v6, v2, v3, s66
                                        ; implicit-def: $vgpr2_vgpr3
; %bb.964:                              ;   in Loop: Header=BB4_587 Depth=1
	s_andn2_saveexec_b64 s[22:23], s[22:23]
; %bb.965:                              ;   in Loop: Header=BB4_587 Depth=1
	v_or_b32_e32 v3, 0x10000, v2
	v_cmp_eq_u32_sdwa vcc, v2, v53 src0_sel:WORD_0 src1_sel:DWORD
	v_cndmask_b32_e32 v6, v3, v2, vcc
; %bb.966:                              ;   in Loop: Header=BB4_587 Depth=1
	s_or_b64 exec, exec, s[22:23]
	v_and_b32_e32 v2, 0xffff0000, v11
	v_and_b32_e32 v8, 0xffff0000, v10
	v_pk_add_f32 v[2:3], v[2:3], v[8:9] op_sel_hi:[0,1]
	v_and_b32_e32 v3, 0x7f800000, v2
	v_cmp_ne_u32_e32 vcc, s65, v3
                                        ; implicit-def: $vgpr7
	s_and_saveexec_b64 s[22:23], vcc
	s_xor_b64 s[22:23], exec, s[22:23]
; %bb.967:                              ;   in Loop: Header=BB4_587 Depth=1
	v_bfe_u32 v3, v2, 16, 1
	v_add3_u32 v7, v2, v3, s66
                                        ; implicit-def: $vgpr2_vgpr3
; %bb.968:                              ;   in Loop: Header=BB4_587 Depth=1
	s_andn2_saveexec_b64 s[22:23], s[22:23]
; %bb.969:                              ;   in Loop: Header=BB4_587 Depth=1
	v_or_b32_e32 v3, 0x10000, v2
	v_cmp_eq_u32_sdwa vcc, v2, v53 src0_sel:WORD_0 src1_sel:DWORD
	v_cndmask_b32_e32 v7, v3, v2, vcc
; %bb.970:                              ;   in Loop: Header=BB4_587 Depth=1
	s_or_b64 exec, exec, s[22:23]
	v_lshrrev_b32_e32 v2, 16, v5
	v_and_or_b32 v3, v20, s67, v2
	v_lshrrev_b32_e32 v2, 16, v4
	v_lshrrev_b32_e32 v4, 16, v21
	;; [unrolled: 1-line block ×3, first 2 shown]
	v_and_or_b32 v2, v12, s67, v2
	v_and_or_b32 v4, v13, s67, v4
	;; [unrolled: 1-line block ×3, first 2 shown]
	global_store_dwordx4 v[0:1], v[2:5], off glc slc
.LBB4_971:                              ;   in Loop: Header=BB4_587 Depth=1
	s_or_b64 exec, exec, s[20:21]
	v_and_b32_e32 v1, 14, v9
	v_cndmask_b32_e64 v0, v17, v1, s[18:19]
	v_accvgpr_write_b32 a48, v0
	v_cmp_ne_u32_e32 vcc, 0, v0
	s_mov_b64 s[20:21], 0
	v_mov_b32_e32 v19, 0
                                        ; implicit-def: $vgpr20
                                        ; implicit-def: $vgpr0
                                        ; implicit-def: $agpr50_agpr51
	s_and_saveexec_b64 s[22:23], vcc
	s_cbranch_execz .LBB4_973
; %bb.972:                              ;   in Loop: Header=BB4_587 Depth=1
	v_sub_u32_e32 v0, v17, v1
	v_cndmask_b32_e64 v0, 0, v0, s[18:19]
	v_cmp_lt_i32_e32 vcc, 0, v18
	v_add3_u32 v19, v16, v14, v0
	v_cndmask_b32_e32 v0, 0, v28, vcc
	v_sub_u32_e32 v0, v0, v18
	v_lshl_add_u32 v1, v0, 6, v15
	v_ashrrev_i32_e32 v0, 31, v1
	v_lshrrev_b32_e32 v0, 26, v0
	s_trap 2
	ds_read_b64 a[50:51], v0
	v_add_u32_e32 v2, v1, v0
	v_ashrrev_i32_e32 v0, 6, v2
	v_and_b32_e32 v2, 0xffffffc0, v2
	s_mov_b64 s[20:21], exec
	v_sub_u32_e32 v20, v1, v2
.LBB4_973:                              ;   in Loop: Header=BB4_587 Depth=1
	s_or_b64 exec, exec, s[22:23]
	s_and_b64 s[18:19], s[20:21], exec
.LBB4_974:                              ;   in Loop: Header=BB4_587 Depth=1
	s_or_b64 exec, exec, s[44:45]
	s_waitcnt lgkmcnt(0)
	v_accvgpr_read_b32 v4, a50
	v_accvgpr_read_b32 v22, a45
	;; [unrolled: 1-line block ×5, first 2 shown]
	s_and_saveexec_b64 s[22:23], s[18:19]
	s_cbranch_execz .LBB4_1035
.LBB4_975:                              ;   in Loop: Header=BB4_587 Depth=1
	v_lshlrev_b32_e32 v1, 8, v0
	v_lshlrev_b32_e32 v2, 1, v20
	v_add3_u32 v10, v19, v2, v1
	v_ashrrev_i32_e32 v1, 31, v24
	v_add_u32_sdwa v1, v24, v1 dst_sel:DWORD dst_unused:UNUSED_PAD src0_sel:DWORD src1_sel:BYTE_3
	s_waitcnt lgkmcnt(0)
	v_pk_mov_b32 v[6:7], v[4:5], v[4:5] op_sel:[0,1]
	v_ashrrev_i32_e32 v14, 8, v1
	v_ashrrev_i32_e32 v11, 31, v10
	v_sub_u32_e32 v4, v14, v0
	v_add_co_u32_e32 v0, vcc, v6, v10
	v_accvgpr_write_b32 a23, v7
	v_addc_co_u32_e32 v1, vcc, v7, v11, vcc
	v_accvgpr_write_b32 a22, v6
	v_cmp_lt_i32_e32 vcc, 0, v4
	s_mov_b64 s[20:21], 0
	v_mov_b32_e32 v5, 0
	v_mov_b32_e32 v2, 0
	;; [unrolled: 1-line block ×4, first 2 shown]
	s_and_saveexec_b64 s[18:19], vcc
	s_cbranch_execz .LBB4_999
; %bb.976:                              ;   in Loop: Header=BB4_587 Depth=1
	s_trap 2
	ds_read_b128 v[6:9], v0
	s_mov_b64 s[46:47], 0
	s_mov_b64 s[44:45], 0
                                        ; implicit-def: $sgpr20_sgpr21
                                        ; implicit-def: $vgpr18
                                        ; implicit-def: $vgpr17
                                        ; implicit-def: $vgpr15
                                        ; implicit-def: $vgpr16
	s_waitcnt lgkmcnt(0)
	v_add_co_u32_e32 v2, vcc, v6, v10
	v_addc_co_u32_e32 v3, vcc, v7, v11, vcc
	v_add_co_u32_e32 v10, vcc, v8, v10
	v_addc_co_u32_e32 v11, vcc, v9, v11, vcc
	s_branch .LBB4_978
.LBB4_977:                              ;   in Loop: Header=BB4_978 Depth=2
	s_or_b64 exec, exec, s[48:49]
	flat_store_short_d16_hi v[0:1], v6 glc slc
	flat_store_short_d16_hi v[0:1], v5 offset:128 glc slc
	v_add_co_u32_e32 v5, vcc, v2, v48
	v_addc_co_u32_e32 v6, vcc, v3, v49, vcc
	v_add_co_u32_e32 v7, vcc, v10, v48
	v_addc_co_u32_e32 v8, vcc, v11, v49, vcc
	v_cndmask_b32_e64 v12, v54, v50, s[46:47]
	v_cndmask_b32_e64 v9, 0, v51, s[46:47]
	v_add_co_u32_e32 v0, vcc, v0, v12
	v_cndmask_b32_e64 v2, v2, v5, s[46:47]
	v_cndmask_b32_e64 v5, 0, v28, s[46:47]
	v_addc_co_u32_e32 v1, vcc, v1, v9, vcc
	v_sub_u32_e32 v4, v4, v5
	v_cmp_gt_i32_e32 vcc, 1, v4
	s_or_b64 s[44:45], vcc, s[44:45]
	s_andn2_b64 s[20:21], s[20:21], exec
	s_and_b64 vcc, s[46:47], exec
	v_cndmask_b32_e64 v3, v3, v6, s[46:47]
	v_cndmask_b32_e64 v11, v11, v8, s[46:47]
	;; [unrolled: 1-line block ×3, first 2 shown]
	s_or_b64 s[20:21], s[20:21], vcc
	s_andn2_b64 exec, exec, s[44:45]
	s_cbranch_execz .LBB4_998
.LBB4_978:                              ;   Parent Loop BB4_587 Depth=1
                                        ; =>  This Inner Loop Header: Depth=2
	flat_load_ushort v12, v[2:3] glc slc
	flat_load_ushort v5, v[2:3] offset:128 glc slc
	flat_load_ushort v13, v[10:11] glc slc
	flat_load_ushort v21, v[10:11] offset:128 glc slc
	s_and_saveexec_b64 s[48:49], s[46:47]
	s_cbranch_execz .LBB4_988
; %bb.979:                              ;   in Loop: Header=BB4_978 Depth=2
	v_lshlrev_b32_e32 v6, 16, v18
	v_lshlrev_b32_e32 v7, 16, v15
	v_add_f32_e32 v7, v6, v7
	v_and_b32_e32 v6, 0x7f800000, v7
	v_cmp_ne_u32_e32 vcc, s65, v6
                                        ; implicit-def: $vgpr6
	s_and_saveexec_b64 s[46:47], vcc
	s_xor_b64 vcc, exec, s[46:47]
; %bb.980:                              ;   in Loop: Header=BB4_978 Depth=2
	v_bfe_u32 v6, v7, 16, 1
	v_add3_u32 v6, v7, v6, s66
                                        ; implicit-def: $vgpr7
; %bb.981:                              ;   in Loop: Header=BB4_978 Depth=2
	s_andn2_saveexec_b64 s[46:47], vcc
; %bb.982:                              ;   in Loop: Header=BB4_978 Depth=2
	v_or_b32_e32 v6, 0x10000, v7
	v_cmp_eq_u32_sdwa vcc, v7, v53 src0_sel:WORD_0 src1_sel:DWORD
	v_cndmask_b32_e32 v6, v6, v7, vcc
; %bb.983:                              ;   in Loop: Header=BB4_978 Depth=2
	s_or_b64 exec, exec, s[46:47]
	v_lshlrev_b32_e32 v7, 16, v17
	v_lshlrev_b32_e32 v8, 16, v16
	v_add_f32_e32 v7, v7, v8
	v_and_b32_e32 v8, 0x7f800000, v7
	v_cmp_ne_u32_e32 vcc, s65, v8
                                        ; implicit-def: $vgpr8
	s_and_saveexec_b64 s[46:47], vcc
	s_xor_b64 vcc, exec, s[46:47]
; %bb.984:                              ;   in Loop: Header=BB4_978 Depth=2
	v_bfe_u32 v8, v7, 16, 1
	v_add3_u32 v8, v7, v8, s66
                                        ; implicit-def: $vgpr7
; %bb.985:                              ;   in Loop: Header=BB4_978 Depth=2
	s_andn2_saveexec_b64 s[46:47], vcc
; %bb.986:                              ;   in Loop: Header=BB4_978 Depth=2
	v_or_b32_e32 v8, 0x10000, v7
	v_cmp_eq_u32_sdwa vcc, v7, v53 src0_sel:WORD_0 src1_sel:DWORD
	v_cndmask_b32_e32 v8, v8, v7, vcc
; %bb.987:                              ;   in Loop: Header=BB4_978 Depth=2
	s_or_b64 exec, exec, s[46:47]
	v_lshrrev_b32_e32 v18, 16, v6
	v_lshrrev_b32_e32 v17, 16, v8
	flat_store_short v[0:1], v18 glc slc
	flat_store_short v[0:1], v17 offset:128 glc slc
	v_add_co_u32_e32 v0, vcc, v0, v50
	v_addc_co_u32_e32 v1, vcc, v1, v51, vcc
.LBB4_988:                              ;   in Loop: Header=BB4_978 Depth=2
	s_or_b64 exec, exec, s[48:49]
	v_add_co_u32_e32 v2, vcc, v2, v50
	v_addc_co_u32_e32 v3, vcc, v3, v51, vcc
	v_add_co_u32_e32 v10, vcc, v10, v50
	v_sub_u32_e32 v4, v4, v28
	v_addc_co_u32_e32 v11, vcc, v11, v51, vcc
	v_cmp_lt_i32_e64 s[46:47], 0, v4
	s_and_saveexec_b64 s[48:49], s[46:47]
	s_cbranch_execz .LBB4_990
; %bb.989:                              ;   in Loop: Header=BB4_978 Depth=2
	flat_load_ushort v18, v[2:3] glc slc
	flat_load_ushort v17, v[2:3] offset:128 glc slc
	flat_load_ushort v15, v[10:11] glc slc
	flat_load_ushort v16, v[10:11] offset:128 glc slc
	v_add_co_u32_e32 v2, vcc, 0x100, v2
	v_addc_co_u32_e32 v3, vcc, 0, v3, vcc
	v_add_co_u32_e32 v10, vcc, 0x100, v10
	v_addc_co_u32_e32 v11, vcc, 0, v11, vcc
.LBB4_990:                              ;   in Loop: Header=BB4_978 Depth=2
	s_or_b64 exec, exec, s[48:49]
	s_waitcnt vmcnt(0) lgkmcnt(0)
	v_lshlrev_b32_e32 v6, 16, v13
	v_lshlrev_b32_e32 v8, 16, v12
	v_pk_add_f32 v[12:13], v[6:7], v[8:9] op_sel_hi:[0,1]
	v_and_b32_e32 v6, 0x7f800000, v12
	v_cmp_ne_u32_e32 vcc, s65, v6
                                        ; implicit-def: $vgpr6
	s_and_saveexec_b64 s[48:49], vcc
	s_xor_b64 vcc, exec, s[48:49]
; %bb.991:                              ;   in Loop: Header=BB4_978 Depth=2
	v_bfe_u32 v6, v12, 16, 1
	v_add3_u32 v6, v12, v6, s66
                                        ; implicit-def: $vgpr12_vgpr13
; %bb.992:                              ;   in Loop: Header=BB4_978 Depth=2
	s_andn2_saveexec_b64 s[48:49], vcc
; %bb.993:                              ;   in Loop: Header=BB4_978 Depth=2
	v_or_b32_e32 v6, 0x10000, v12
	v_cmp_eq_u32_sdwa vcc, v12, v53 src0_sel:WORD_0 src1_sel:DWORD
	v_cndmask_b32_e32 v6, v6, v12, vcc
; %bb.994:                              ;   in Loop: Header=BB4_978 Depth=2
	s_or_b64 exec, exec, s[48:49]
	v_lshlrev_b32_e32 v8, 16, v21
	v_lshlrev_b32_e32 v12, 16, v5
	v_pk_add_f32 v[12:13], v[8:9], v[12:13] op_sel_hi:[0,1]
	v_and_b32_e32 v5, 0x7f800000, v12
	v_cmp_ne_u32_e32 vcc, s65, v5
                                        ; implicit-def: $vgpr5
	s_and_saveexec_b64 s[48:49], vcc
	s_xor_b64 vcc, exec, s[48:49]
; %bb.995:                              ;   in Loop: Header=BB4_978 Depth=2
	v_bfe_u32 v5, v12, 16, 1
	v_add3_u32 v5, v12, v5, s66
                                        ; implicit-def: $vgpr12_vgpr13
; %bb.996:                              ;   in Loop: Header=BB4_978 Depth=2
	s_andn2_saveexec_b64 s[48:49], vcc
	s_cbranch_execz .LBB4_977
; %bb.997:                              ;   in Loop: Header=BB4_978 Depth=2
	v_or_b32_e32 v5, 0x10000, v12
	v_cmp_eq_u32_sdwa vcc, v12, v53 src0_sel:WORD_0 src1_sel:DWORD
	v_cndmask_b32_e32 v5, v5, v12, vcc
	s_branch .LBB4_977
.LBB4_998:                              ;   in Loop: Header=BB4_587 Depth=1
	s_or_b64 exec, exec, s[44:45]
	v_lshlrev_b32_e32 v5, 16, v18
	v_lshlrev_b32_e32 v6, 16, v15
	;; [unrolled: 1-line block ×4, first 2 shown]
	s_and_b64 s[20:21], s[20:21], exec
.LBB4_999:                              ;   in Loop: Header=BB4_587 Depth=1
	s_or_b64 exec, exec, s[18:19]
	s_mov_b64 s[18:19], exec
	v_accvgpr_read_b32 v8, a22
	s_and_b64 s[20:21], s[18:19], s[20:21]
	v_accvgpr_read_b32 v9, a23
	s_mov_b64 exec, s[20:21]
	s_cbranch_execz .LBB4_1009
; %bb.1000:                             ;   in Loop: Header=BB4_587 Depth=1
	v_add_f32_e32 v6, v6, v5
	v_and_b32_e32 v5, 0x7f800000, v6
	v_cmp_ne_u32_e32 vcc, s65, v5
                                        ; implicit-def: $vgpr5
	s_and_saveexec_b64 s[20:21], vcc
	s_xor_b64 s[20:21], exec, s[20:21]
; %bb.1001:                             ;   in Loop: Header=BB4_587 Depth=1
	v_bfe_u32 v5, v6, 16, 1
	v_add3_u32 v5, v6, v5, s66
                                        ; implicit-def: $vgpr6
; %bb.1002:                             ;   in Loop: Header=BB4_587 Depth=1
	s_andn2_saveexec_b64 s[20:21], s[20:21]
; %bb.1003:                             ;   in Loop: Header=BB4_587 Depth=1
	v_or_b32_e32 v5, 0x10000, v6
	v_cmp_eq_u32_sdwa vcc, v6, v53 src0_sel:WORD_0 src1_sel:DWORD
	v_cndmask_b32_e32 v5, v5, v6, vcc
; %bb.1004:                             ;   in Loop: Header=BB4_587 Depth=1
	s_or_b64 exec, exec, s[20:21]
	v_add_f32_e32 v2, v3, v2
	v_and_b32_e32 v3, 0x7f800000, v2
	v_cmp_ne_u32_e32 vcc, s65, v3
                                        ; implicit-def: $vgpr3
	s_and_saveexec_b64 s[20:21], vcc
	s_xor_b64 s[20:21], exec, s[20:21]
; %bb.1005:                             ;   in Loop: Header=BB4_587 Depth=1
	v_bfe_u32 v3, v2, 16, 1
	v_add3_u32 v3, v2, v3, s66
                                        ; implicit-def: $vgpr2
; %bb.1006:                             ;   in Loop: Header=BB4_587 Depth=1
	s_andn2_saveexec_b64 s[20:21], s[20:21]
; %bb.1007:                             ;   in Loop: Header=BB4_587 Depth=1
	v_or_b32_e32 v3, 0x10000, v2
	v_cmp_eq_u32_sdwa vcc, v2, v53 src0_sel:WORD_0 src1_sel:DWORD
	v_cndmask_b32_e32 v3, v3, v2, vcc
; %bb.1008:                             ;   in Loop: Header=BB4_587 Depth=1
	s_or_b64 exec, exec, s[20:21]
	flat_store_short_d16_hi v[0:1], v5 glc slc
	flat_store_short_d16_hi v[0:1], v3 offset:128 glc slc
.LBB4_1009:                             ;   in Loop: Header=BB4_587 Depth=1
	s_or_b64 exec, exec, s[18:19]
	v_lshlrev_b32_e32 v0, 8, v14
	v_cmp_ne_u32_e32 vcc, v24, v0
	s_and_b64 exec, exec, vcc
	s_cbranch_execz .LBB4_1035
; %bb.1010:                             ;   in Loop: Header=BB4_587 Depth=1
	v_lshlrev_b32_e32 v1, 6, v4
	v_sub_u32_e32 v1, v20, v1
	v_ashrrev_i32_e32 v2, 31, v1
	v_lshrrev_b32_e32 v2, 26, v2
	v_add_u32_e32 v2, v1, v2
	v_and_b32_e32 v3, 0x7fffffc0, v2
	v_sub_u32_e32 v1, v1, v3
	v_lshlrev_b32_e32 v2, 1, v2
	v_and_b32_e32 v2, 0xffffff80, v2
	v_lshlrev_b32_e32 v1, 1, v1
	v_add3_u32 v0, v2, v1, v0
	v_add_u32_e32 v2, v0, v19
	v_ashrrev_i32_e32 v1, 31, v2
	v_add_co_u32_e32 v12, vcc, v2, v8
	v_sub_u32_e32 v4, v24, v0
	v_addc_co_u32_e32 v13, vcc, v1, v9, vcc
	v_cmp_lt_i32_e32 vcc, 1, v4
	s_mov_b64 s[18:19], 0
	s_and_saveexec_b64 s[44:45], vcc
	s_cbranch_execz .LBB4_1029
; %bb.1011:                             ;   in Loop: Header=BB4_587 Depth=1
	s_trap 2
	ds_read_b128 v[6:9], v0
	s_mov_b64 s[50:51], 0
	s_mov_b64 s[46:47], 0
	v_accvgpr_read_b32 v10, a40
	v_accvgpr_read_b32 v16, a42
	s_waitcnt lgkmcnt(0)
	v_add_co_u32_e32 v0, vcc, v6, v2
	v_addc_co_u32_e32 v11, vcc, v7, v1, vcc
	v_add_co_u32_e32 v2, vcc, v8, v2
	v_addc_co_u32_e32 v3, vcc, v9, v1, vcc
	v_accvgpr_read_b32 v17, a41
	v_accvgpr_read_b32 v18, a43
	;; [unrolled: 1-line block ×3, first 2 shown]
                                        ; implicit-def: $sgpr48_sgpr49
	s_branch .LBB4_1013
.LBB4_1012:                             ;   in Loop: Header=BB4_1013 Depth=2
	s_or_b64 exec, exec, s[18:19]
	v_lshrrev_b32_e32 v4, 16, v4
	buffer_store_short v4, off, s[0:3], s33 offset:160
	flat_store_short v[12:13], v4 glc slc
	v_add_co_u32_e32 v4, vcc, v0, v16
	v_addc_co_u32_e32 v5, vcc, v11, v17, vcc
	v_add_co_u32_e32 v6, vcc, v2, v16
	v_addc_co_u32_e32 v7, vcc, v3, v17, vcc
	v_cndmask_b32_e64 v9, v55, v18, s[50:51]
	v_cndmask_b32_e64 v8, 0, v19, s[50:51]
	v_add_co_u32_e32 v12, vcc, v12, v9
	v_cndmask_b32_e64 v0, v0, v4, s[50:51]
	v_cndmask_b32_e64 v4, 0, v10, s[50:51]
	v_addc_co_u32_e32 v13, vcc, v13, v8, vcc
	v_sub_u32_e32 v4, v1, v4
	v_cmp_gt_i32_e32 vcc, 2, v4
	s_or_b64 s[46:47], vcc, s[46:47]
	s_andn2_b64 s[18:19], s[48:49], exec
	s_and_b64 s[20:21], s[50:51], exec
	v_cndmask_b32_e64 v3, v3, v7, s[50:51]
	v_cndmask_b32_e64 v2, v2, v6, s[50:51]
	;; [unrolled: 1-line block ×3, first 2 shown]
	s_or_b64 s[48:49], s[18:19], s[20:21]
	s_andn2_b64 exec, exec, s[46:47]
	s_cbranch_execz .LBB4_1028
.LBB4_1013:                             ;   Parent Loop BB4_587 Depth=1
                                        ; =>  This Loop Header: Depth=2
                                        ;       Child Loop BB4_1014 Depth 3
                                        ;       Child Loop BB4_1023 Depth 3
	v_lshrrev_b32_e64 v1, 6, s33
	v_add_u32_e32 v1, 0xa0, v1
	s_mov_b64 s[52:53], -1
	s_mov_b64 s[54:55], 0
.LBB4_1014:                             ;   Parent Loop BB4_587 Depth=1
                                        ;     Parent Loop BB4_1013 Depth=2
                                        ; =>    This Inner Loop Header: Depth=3
	s_cmp_eq_u32 s54, 1
	s_cselect_b64 s[18:19], -1, 0
	v_cndmask_b32_e64 v7, v11, v3, s[18:19]
	v_cndmask_b32_e64 v6, v0, v2, s[18:19]
	flat_load_ushort v5, v[6:7] glc slc
	v_add_co_u32_e32 v6, vcc, 0x80, v6
	s_cmp_eq_u32 s54, 0
	v_addc_co_u32_e32 v7, vcc, 0, v7, vcc
	s_cselect_b64 vcc, -1, 0
	s_and_b64 s[20:21], exec, s[52:53]
	s_mov_b64 s[54:55], 1
	v_cndmask_b32_e64 v2, v2, v6, s[18:19]
	s_mov_b64 s[52:53], 0
	v_cndmask_b32_e64 v3, v3, v7, s[18:19]
	v_cndmask_b32_e32 v11, v11, v7, vcc
	v_cndmask_b32_e32 v0, v0, v6, vcc
	s_mov_b64 vcc, s[20:21]
	s_waitcnt vmcnt(0) lgkmcnt(0)
	buffer_store_short v5, v1, s[0:3], 0 offen
	v_lshrrev_b32_e64 v1, 6, s33
	v_add_u32_e32 v1, 0xc0, v1
	s_cbranch_vccnz .LBB4_1014
; %bb.1015:                             ;   in Loop: Header=BB4_1013 Depth=2
	s_and_saveexec_b64 s[18:19], s[50:51]
	s_cbranch_execz .LBB4_1021
; %bb.1016:                             ;   in Loop: Header=BB4_1013 Depth=2
	buffer_load_ushort v1, off, s[0:3], s33 offset:154
	buffer_load_ushort v5, off, s[0:3], s33 offset:152
	s_waitcnt vmcnt(1)
	v_lshlrev_b32_e32 v6, 16, v1
	s_waitcnt vmcnt(0)
	v_lshlrev_b32_e32 v8, 16, v5
	v_pk_add_f32 v[14:15], v[6:7], v[8:9] op_sel_hi:[0,1]
	v_and_b32_e32 v1, 0x7f800000, v14
	v_cmp_ne_u32_e32 vcc, s65, v1
                                        ; implicit-def: $vgpr1
	s_and_saveexec_b64 s[20:21], vcc
	s_xor_b64 s[20:21], exec, s[20:21]
; %bb.1017:                             ;   in Loop: Header=BB4_1013 Depth=2
	v_bfe_u32 v1, v14, 16, 1
	v_add3_u32 v1, v14, v1, s66
                                        ; implicit-def: $vgpr14_vgpr15
; %bb.1018:                             ;   in Loop: Header=BB4_1013 Depth=2
	s_andn2_saveexec_b64 s[20:21], s[20:21]
; %bb.1019:                             ;   in Loop: Header=BB4_1013 Depth=2
	v_or_b32_e32 v1, 0x10000, v14
	v_cmp_eq_u32_sdwa vcc, v14, v53 src0_sel:WORD_0 src1_sel:DWORD
	v_cndmask_b32_e32 v1, v1, v14, vcc
; %bb.1020:                             ;   in Loop: Header=BB4_1013 Depth=2
	s_or_b64 exec, exec, s[20:21]
	v_lshrrev_b32_e32 v1, 16, v1
	flat_store_short v[12:13], v1 glc slc
	v_add_co_u32_e32 v12, vcc, v12, v18
	v_addc_co_u32_e32 v13, vcc, v13, v19, vcc
	buffer_store_short v1, off, s[0:3], s33 offset:152
.LBB4_1021:                             ;   in Loop: Header=BB4_1013 Depth=2
	s_or_b64 exec, exec, s[18:19]
	v_add_co_u32_e32 v0, vcc, v0, v16
	v_addc_co_u32_e32 v11, vcc, v11, v17, vcc
	v_add_co_u32_e32 v2, vcc, v2, v16
	v_sub_u32_e32 v1, v4, v10
	v_addc_co_u32_e32 v3, vcc, v3, v17, vcc
	v_cmp_lt_i32_e64 s[50:51], 1, v1
	s_and_saveexec_b64 s[52:53], s[50:51]
	s_cbranch_execz .LBB4_1024
; %bb.1022:                             ;   in Loop: Header=BB4_1013 Depth=2
	v_lshrrev_b32_e64 v4, 6, s33
	v_add_u32_e32 v4, 0x98, v4
	s_mov_b64 s[56:57], 0
	s_mov_b64 s[54:55], -1
.LBB4_1023:                             ;   Parent Loop BB4_587 Depth=1
                                        ;     Parent Loop BB4_1013 Depth=2
                                        ; =>    This Inner Loop Header: Depth=3
	s_cmp_eq_u32 s56, 1
	s_cselect_b64 s[18:19], -1, 0
	v_cndmask_b32_e64 v7, v11, v3, s[18:19]
	v_cndmask_b32_e64 v6, v0, v2, s[18:19]
	flat_load_ushort v5, v[6:7] glc slc
	v_add_co_u32_e32 v6, vcc, 0x80, v6
	s_cmp_eq_u32 s56, 0
	v_addc_co_u32_e32 v7, vcc, 0, v7, vcc
	s_cselect_b64 vcc, -1, 0
	s_and_b64 s[20:21], exec, s[54:55]
	s_mov_b64 s[56:57], 1
	v_cndmask_b32_e64 v2, v2, v6, s[18:19]
	s_mov_b64 s[54:55], 0
	v_cndmask_b32_e32 v11, v11, v7, vcc
	v_cndmask_b32_e32 v0, v0, v6, vcc
	v_cndmask_b32_e64 v3, v3, v7, s[18:19]
	s_mov_b64 vcc, s[20:21]
	s_waitcnt vmcnt(0) lgkmcnt(0)
	buffer_store_short v5, v4, s[0:3], 0 offen
	v_lshrrev_b32_e64 v4, 6, s33
	v_add_u32_e32 v4, 0x9a, v4
	s_cbranch_vccnz .LBB4_1023
.LBB4_1024:                             ;   in Loop: Header=BB4_1013 Depth=2
	s_or_b64 exec, exec, s[52:53]
	buffer_load_ushort v4, off, s[0:3], s33 offset:192
	buffer_load_ushort v5, off, s[0:3], s33 offset:160
	s_waitcnt vmcnt(0)
	v_lshlrev_b32_e32 v4, 16, v4
	v_lshlrev_b32_e32 v6, 16, v5
	v_pk_add_f32 v[14:15], v[4:5], v[6:7] op_sel_hi:[0,1]
	v_and_b32_e32 v4, 0x7f800000, v14
	v_cmp_ne_u32_e32 vcc, s65, v4
                                        ; implicit-def: $vgpr4
	s_and_saveexec_b64 s[18:19], vcc
	s_xor_b64 s[18:19], exec, s[18:19]
; %bb.1025:                             ;   in Loop: Header=BB4_1013 Depth=2
	v_bfe_u32 v4, v14, 16, 1
	v_add3_u32 v4, v14, v4, s66
                                        ; implicit-def: $vgpr14_vgpr15
; %bb.1026:                             ;   in Loop: Header=BB4_1013 Depth=2
	s_andn2_saveexec_b64 s[18:19], s[18:19]
	s_cbranch_execz .LBB4_1012
; %bb.1027:                             ;   in Loop: Header=BB4_1013 Depth=2
	v_or_b32_e32 v4, 0x10000, v14
	v_cmp_eq_u32_sdwa vcc, v14, v53 src0_sel:WORD_0 src1_sel:DWORD
	v_cndmask_b32_e32 v4, v4, v14, vcc
	s_branch .LBB4_1012
.LBB4_1028:                             ;   in Loop: Header=BB4_587 Depth=1
	s_or_b64 exec, exec, s[46:47]
	s_and_b64 s[18:19], s[48:49], exec
.LBB4_1029:                             ;   in Loop: Header=BB4_587 Depth=1
	s_or_b64 exec, exec, s[44:45]
	s_and_b64 exec, exec, s[18:19]
	s_cbranch_execz .LBB4_1035
; %bb.1030:                             ;   in Loop: Header=BB4_587 Depth=1
	buffer_load_ushort v0, off, s[0:3], s33 offset:154
	buffer_load_ushort v1, off, s[0:3], s33 offset:152
	s_waitcnt vmcnt(0)
	v_lshlrev_b32_e32 v0, 16, v0
	v_lshlrev_b32_e32 v2, 16, v1
	v_pk_add_f32 v[0:1], v[0:1], v[2:3] op_sel_hi:[0,1]
	v_and_b32_e32 v1, 0x7f800000, v0
	v_cmp_ne_u32_e32 vcc, s65, v1
                                        ; implicit-def: $vgpr2
	s_and_saveexec_b64 s[18:19], vcc
	s_xor_b64 s[18:19], exec, s[18:19]
; %bb.1031:                             ;   in Loop: Header=BB4_587 Depth=1
	v_bfe_u32 v1, v0, 16, 1
	v_add3_u32 v2, v0, v1, s66
                                        ; implicit-def: $vgpr0_vgpr1
; %bb.1032:                             ;   in Loop: Header=BB4_587 Depth=1
	s_andn2_saveexec_b64 s[18:19], s[18:19]
; %bb.1033:                             ;   in Loop: Header=BB4_587 Depth=1
	v_or_b32_e32 v1, 0x10000, v0
	v_cmp_eq_u32_sdwa vcc, v0, v53 src0_sel:WORD_0 src1_sel:DWORD
	v_cndmask_b32_e32 v2, v1, v0, vcc
; %bb.1034:                             ;   in Loop: Header=BB4_587 Depth=1
	s_or_b64 exec, exec, s[18:19]
	flat_store_short_d16_hi v[12:13], v2 glc slc
.LBB4_1035:                             ;   in Loop: Header=BB4_587 Depth=1
	s_or_b64 exec, exec, s[22:23]
	v_accvgpr_read_b32 v9, a3
	v_accvgpr_read_b32 v19, a13
	v_cmp_ne_u32_e64 s[18:19], 0, v23
	v_accvgpr_read_b32 v8, a2
	v_accvgpr_read_b32 v18, a12
	;; [unrolled: 1-line block ×4, first 2 shown]
.LBB4_1036:                             ;   in Loop: Header=BB4_587 Depth=1
	s_and_saveexec_b64 s[20:21], s[10:11]
	s_cbranch_execz .LBB4_1055
; %bb.1037:                             ;   in Loop: Header=BB4_587 Depth=1
	s_and_saveexec_b64 s[22:23], s[34:35]
	s_xor_b64 s[22:23], exec, s[22:23]
	s_cbranch_execz .LBB4_1052
; %bb.1038:                             ;   in Loop: Header=BB4_587 Depth=1
	s_and_saveexec_b64 s[44:45], s[12:13]
	s_cbranch_execz .LBB4_1051
; %bb.1039:                             ;   in Loop: Header=BB4_587 Depth=1
	s_mov_b64 s[48:49], exec
	v_mbcnt_lo_u32_b32 v0, s48, 0
	v_mbcnt_hi_u32_b32 v0, s49, v0
	v_cmp_eq_u32_e32 vcc, 0, v0
	s_waitcnt vmcnt(0) lgkmcnt(0)
	buffer_wbinvl1_vol
	s_and_saveexec_b64 s[46:47], vcc
	s_cbranch_execz .LBB4_1041
; %bb.1040:                             ;   in Loop: Header=BB4_587 Depth=1
	s_bcnt1_i32_b64 vcc_lo, s[48:49]
	v_mov_b32_e32 v52, vcc_lo
	ds_add_u64 v0, v[52:53]
	s_trap 2
.LBB4_1041:                             ;   in Loop: Header=BB4_587 Depth=1
	s_or_b64 exec, exec, s[46:47]
	s_trap 2
	ds_read_b64 v[0:1], v0
	v_accvgpr_read_b32 v2, a18
	v_accvgpr_read_b32 v3, a19
	v_add_co_u32_e32 v2, vcc, v2, v28
	v_addc_co_u32_e32 v3, vcc, 0, v3, vcc
	v_accvgpr_write_b32 a19, v3
	v_accvgpr_write_b32 a18, v2
	s_waitcnt lgkmcnt(0)
	v_cmp_lt_u64_e32 vcc, v[0:1], v[2:3]
	s_and_saveexec_b64 s[46:47], vcc
	s_cbranch_execz .LBB4_1050
; %bb.1042:                             ;   in Loop: Header=BB4_587 Depth=1
	s_mov_b32 s58, 0
	s_mov_b64 s[48:49], 0
                                        ; implicit-def: $sgpr50_sgpr51
                                        ; implicit-def: $sgpr52_sgpr53
	s_branch .LBB4_1044
.LBB4_1043:                             ;   in Loop: Header=BB4_1044 Depth=2
	s_or_b64 exec, exec, s[56:57]
	s_and_b64 vcc, exec, vcc
	s_or_b64 s[48:49], vcc, s[48:49]
	s_andn2_b64 vcc, s[50:51], exec
	s_and_b64 s[50:51], s[52:53], exec
	s_or_b64 s[50:51], vcc, s[50:51]
	s_andn2_b64 exec, exec, s[48:49]
	s_cbranch_execz .LBB4_1048
.LBB4_1044:                             ;   Parent Loop BB4_587 Depth=1
                                        ; =>  This Inner Loop Header: Depth=2
	s_add_i32 s58, s58, 1
	s_cmpk_lg_i32 s58, 0x2710
	s_cselect_b64 s[54:55], -1, 0
	s_and_b64 vcc, exec, s[54:55]
                                        ; implicit-def: $sgpr56_sgpr57
	s_cbranch_vccnz .LBB4_1046
; %bb.1045:                             ;   in Loop: Header=BB4_1044 Depth=2
	s_trap 2
	ds_read_b64 v[0:1], v0
	s_andn2_b64 s[54:55], s[54:55], exec
	s_mov_b32 s58, 0
	s_mov_b64 s[56:57], -1
	s_waitcnt lgkmcnt(0)
	flat_load_dword v0, v[0:1] glc
	s_waitcnt vmcnt(0) lgkmcnt(0)
	buffer_invl2
	buffer_wbinvl1_vol
	v_cmp_eq_u32_e32 vcc, 0, v0
	s_and_b64 vcc, vcc, exec
	s_or_b64 s[54:55], s[54:55], vcc
.LBB4_1046:                             ;   in Loop: Header=BB4_1044 Depth=2
	s_andn2_b64 s[52:53], s[52:53], exec
	s_and_b64 s[56:57], s[56:57], exec
	s_mov_b64 vcc, -1
	s_or_b64 s[52:53], s[52:53], s[56:57]
	s_and_saveexec_b64 s[56:57], s[54:55]
	s_cbranch_execz .LBB4_1043
; %bb.1047:                             ;   in Loop: Header=BB4_1044 Depth=2
	s_sleep 1
	s_trap 2
	ds_read_b64 v[0:1], v0
	v_accvgpr_read_b32 v2, a18
	v_accvgpr_read_b32 v3, a19
	s_andn2_b64 s[52:53], s[52:53], exec
	s_waitcnt lgkmcnt(0)
	v_cmp_ge_u64_e32 vcc, v[0:1], v[2:3]
	s_orn2_b64 vcc, vcc, exec
	s_branch .LBB4_1043
.LBB4_1048:                             ;   in Loop: Header=BB4_587 Depth=1
	s_or_b64 exec, exec, s[48:49]
	s_and_saveexec_b64 vcc, s[50:51]
	s_xor_b64 vcc, exec, vcc
	s_cbranch_execz .LBB4_1050
; %bb.1049:                             ;   in Loop: Header=BB4_587 Depth=1
	v_mov_b32_e32 v0, 1
	ds_write_b32 v0, v0
	s_trap 2
.LBB4_1050:                             ;   in Loop: Header=BB4_587 Depth=1
	s_or_b64 exec, exec, s[46:47]
	;;#ASMSTART
	s_wakeup
	;;#ASMEND
.LBB4_1051:                             ;   in Loop: Header=BB4_587 Depth=1
	s_or_b64 exec, exec, s[44:45]
.LBB4_1052:                             ;   in Loop: Header=BB4_587 Depth=1
	s_andn2_saveexec_b64 s[22:23], s[22:23]
	s_cbranch_execz .LBB4_1054
; %bb.1053:                             ;   in Loop: Header=BB4_587 Depth=1
	s_waitcnt vmcnt(0) lgkmcnt(0)
	buffer_wbinvl1_vol
	s_barrier
.LBB4_1054:                             ;   in Loop: Header=BB4_587 Depth=1
	s_or_b64 exec, exec, s[22:23]
.LBB4_1055:                             ;   in Loop: Header=BB4_587 Depth=1
	s_or_b64 exec, exec, s[20:21]
	v_and_b32_e32 v0, 16, v62
	v_cmp_ne_u32_e32 vcc, 0, v0
	s_and_b64 s[20:21], vcc, s[18:19]
	s_and_saveexec_b64 s[18:19], s[20:21]
	s_cbranch_execz .LBB4_1057
; %bb.1056:                             ;   in Loop: Header=BB4_587 Depth=1
	s_waitcnt vmcnt(0) lgkmcnt(0)
	buffer_wbinvl1_vol
.LBB4_1057:                             ;   in Loop: Header=BB4_587 Depth=1
	s_or_b64 exec, exec, s[18:19]
	v_and_b32_e32 v0, 32, v62
	v_cmp_ne_u32_e32 vcc, 0, v0
	s_and_saveexec_b64 s[18:19], vcc
	s_cbranch_execz .LBB4_1059
; %bb.1058:                             ;   in Loop: Header=BB4_587 Depth=1
	v_add_co_u32_e32 v18, vcc, 1, v18
	v_addc_co_u32_e32 v19, vcc, 0, v19, vcc
	flat_store_dwordx2 v[42:43], v[18:19]
.LBB4_1059:                             ;   in Loop: Header=BB4_587 Depth=1
	s_or_b64 exec, exec, s[18:19]
	v_mov_b32_e32 v10, v22
.LBB4_1060:                             ;   in Loop: Header=BB4_587 Depth=1
	s_or_b64 exec, exec, s[42:43]
	s_and_saveexec_b64 s[20:21], s[40:41]
	s_cbranch_execz .LBB4_586
; %bb.1061:                             ;   in Loop: Header=BB4_587 Depth=1
	v_and_b32_e32 v0, 4, v62
	v_cmp_ne_u32_e32 vcc, 0, v0
	s_mov_b64 s[22:23], -1
	s_and_saveexec_b64 s[18:19], vcc
	s_cbranch_execnz .LBB4_1064
; %bb.1062:                             ;   in Loop: Header=BB4_587 Depth=1
	s_or_b64 exec, exec, s[18:19]
	s_xor_b64 s[18:19], s[22:23], -1
	s_and_saveexec_b64 s[22:23], s[18:19]
	s_cbranch_execnz .LBB4_1075
.LBB4_1063:                             ;   in Loop: Header=BB4_587 Depth=1
	s_or_b64 exec, exec, s[22:23]
	s_and_saveexec_b64 s[18:19], s[10:11]
	s_cbranch_execnz .LBB4_1084
	s_branch .LBB4_1102
.LBB4_1064:                             ;   in Loop: Header=BB4_587 Depth=1
	v_add_co_u32_e32 v0, vcc, 1, v18
	v_addc_co_u32_e32 v1, vcc, 0, v19, vcc
	v_cmp_lt_u64_e32 vcc, v[46:47], v[0:1]
	v_mov_b32_e32 v2, 1
	s_and_saveexec_b64 s[22:23], vcc
	s_cbranch_execz .LBB4_1074
; %bb.1065:                             ;   in Loop: Header=BB4_587 Depth=1
	s_mov_b64 s[40:41], 0
	v_mov_b32_e32 v2, 0
                                        ; implicit-def: $sgpr42_sgpr43
	s_branch .LBB4_1069
.LBB4_1066:                             ;   in Loop: Header=BB4_1069 Depth=2
	s_or_b64 exec, exec, s[50:51]
	v_mov_b32_e32 v3, 0
	s_orn2_b64 s[48:49], s[48:49], exec
.LBB4_1067:                             ;   in Loop: Header=BB4_1069 Depth=2
	s_or_b64 exec, exec, s[46:47]
	s_andn2_b64 vcc, s[42:43], exec
	s_and_b64 s[42:43], s[48:49], exec
	s_or_b64 s[42:43], vcc, s[42:43]
	v_mov_b32_e32 v2, v3
.LBB4_1068:                             ;   in Loop: Header=BB4_1069 Depth=2
	s_or_b64 exec, exec, s[44:45]
	s_waitcnt vmcnt(0) lgkmcnt(0)
	v_cmp_ge_u64_e32 vcc, v[46:47], v[0:1]
	s_xor_b64 s[44:45], s[42:43], -1
	s_or_b64 vcc, s[44:45], vcc
	s_and_b64 vcc, exec, vcc
	s_or_b64 s[40:41], vcc, s[40:41]
	s_andn2_b64 exec, exec, s[40:41]
	s_cbranch_execz .LBB4_1073
.LBB4_1069:                             ;   Parent Loop BB4_587 Depth=1
                                        ; =>  This Inner Loop Header: Depth=2
	s_sleep 1
	flat_load_dwordx2 v[46:47], v[42:43] glc
	v_and_b32_e32 v3, 64, v62
	v_cmp_eq_u32_e32 vcc, 0, v3
	s_andn2_b64 s[42:43], s[42:43], exec
	s_and_saveexec_b64 s[44:45], vcc
	s_cbranch_execz .LBB4_1068
; %bb.1070:                             ;   in Loop: Header=BB4_1069 Depth=2
	v_add_u32_e32 v3, 1, v2
	v_cmp_lt_i32_e32 vcc, s63, v2
	s_mov_b64 s[48:49], -1
	s_and_saveexec_b64 s[46:47], vcc
	s_cbranch_execz .LBB4_1067
; %bb.1071:                             ;   in Loop: Header=BB4_1069 Depth=2
	s_trap 2
	ds_read_b64 v[2:3], v0
	s_waitcnt vmcnt(0) lgkmcnt(0)
	flat_load_dword v2, v[2:3] glc
	s_waitcnt vmcnt(0) lgkmcnt(0)
	buffer_invl2
	buffer_wbinvl1_vol
	v_cmp_ne_u32_e32 vcc, 0, v2
	s_and_saveexec_b64 s[50:51], vcc
	s_cbranch_execz .LBB4_1066
; %bb.1072:                             ;   in Loop: Header=BB4_1069 Depth=2
	v_or_b32_e32 v62, 64, v62
	s_xor_b64 s[48:49], exec, -1
	ds_write_b32 v0, v2
	s_trap 2
	s_branch .LBB4_1066
.LBB4_1073:                             ;   in Loop: Header=BB4_587 Depth=1
	s_or_b64 exec, exec, s[40:41]
	v_and_b32_e32 v2, 4, v62
.LBB4_1074:                             ;   in Loop: Header=BB4_587 Depth=1
	s_or_b64 exec, exec, s[22:23]
	v_cmp_eq_u32_e32 vcc, 0, v2
	s_orn2_b64 s[22:23], vcc, exec
	;;#ASMSTART
	s_wakeup
	;;#ASMEND
	s_or_b64 exec, exec, s[18:19]
	s_xor_b64 s[18:19], s[22:23], -1
	s_and_saveexec_b64 s[22:23], s[18:19]
	s_cbranch_execz .LBB4_1063
.LBB4_1075:                             ;   in Loop: Header=BB4_587 Depth=1
	v_and_b32_e32 v0, 0x100, v62
	v_cmp_ne_u32_e32 vcc, 0, v0
	s_waitcnt lgkmcnt(0)
	v_and_b32_e32 v4, 7, v18
	s_mov_b64 s[18:19], -1
                                        ; implicit-def: $vgpr0_vgpr1
	s_and_saveexec_b64 s[40:41], vcc
	s_cbranch_execz .LBB4_1079
; %bb.1076:                             ;   in Loop: Header=BB4_587 Depth=1
	v_mad_u64_u32 v[2:3], s[18:19], v4, 24, v[16:17]
	flat_load_dword v0, v[2:3]
	s_waitcnt vmcnt(0) lgkmcnt(0)
	v_cmp_ne_u32_e32 vcc, 1, v0
	v_cmp_eq_u32_e64 s[18:19], 1, v0
                                        ; implicit-def: $vgpr0_vgpr1
	s_and_saveexec_b64 s[42:43], s[18:19]
	s_cbranch_execz .LBB4_1078
; %bb.1077:                             ;   in Loop: Header=BB4_587 Depth=1
	flat_load_dword v0, v[2:3] offset:4 glc
	s_waitcnt vmcnt(0) lgkmcnt(0)
	v_ashrrev_i32_e32 v1, 31, v0
	v_lshrrev_b64 v[0:1], 1, v[0:1]
.LBB4_1078:                             ;   in Loop: Header=BB4_587 Depth=1
	s_or_b64 exec, exec, s[42:43]
	s_orn2_b64 s[18:19], vcc, exec
.LBB4_1079:                             ;   in Loop: Header=BB4_587 Depth=1
	s_or_b64 exec, exec, s[40:41]
	s_and_saveexec_b64 vcc, s[18:19]
; %bb.1080:                             ;   in Loop: Header=BB4_587 Depth=1
	v_accvgpr_read_b32 v0, a14
	v_mad_i64_i32 v[0:1], s[18:19], v4, v0, 0
; %bb.1081:                             ;   in Loop: Header=BB4_587 Depth=1
	s_or_b64 exec, exec, vcc
	v_lshlrev_b64 v[0:1], 1, v[0:1]
	v_accvgpr_read_b32 v2, a16
	v_accvgpr_read_b32 v3, a17
	v_add_co_u32_e32 v0, vcc, v2, v0
	v_addc_co_u32_e32 v1, vcc, v3, v1, vcc
	ds_write_b64 v0, v[0:1] offset:728
	v_and_b32_e32 v0, 0x2000, v62
	v_cmp_ne_u32_e32 vcc, 0, v0
	s_and_saveexec_b64 s[18:19], vcc
	s_cbranch_execz .LBB4_1083
; %bb.1082:                             ;   in Loop: Header=BB4_587 Depth=1
	ds_read_b64 v[0:1], v0 offset:584
	s_waitcnt lgkmcnt(0)
	v_add_co_u32_e32 v0, vcc, 1, v0
	v_addc_co_u32_e32 v1, vcc, 0, v1, vcc
	ds_write_b64 v0, v[0:1] offset:584
.LBB4_1083:                             ;   in Loop: Header=BB4_587 Depth=1
	s_or_b64 exec, exec, s[18:19]
	v_add_co_u32_e32 v18, vcc, 1, v18
	v_addc_co_u32_e32 v19, vcc, 0, v19, vcc
	s_or_b64 exec, exec, s[22:23]
	s_and_saveexec_b64 s[18:19], s[10:11]
	s_cbranch_execz .LBB4_1102
.LBB4_1084:                             ;   in Loop: Header=BB4_587 Depth=1
	s_and_saveexec_b64 s[22:23], s[34:35]
	s_xor_b64 s[22:23], exec, s[22:23]
	s_cbranch_execz .LBB4_1099
; %bb.1085:                             ;   in Loop: Header=BB4_587 Depth=1
	s_and_saveexec_b64 s[40:41], s[12:13]
	s_cbranch_execz .LBB4_1098
; %bb.1086:                             ;   in Loop: Header=BB4_587 Depth=1
	s_mov_b64 s[44:45], exec
	v_mbcnt_lo_u32_b32 v0, s44, 0
	v_mbcnt_hi_u32_b32 v0, s45, v0
	v_cmp_eq_u32_e32 vcc, 0, v0
	s_waitcnt vmcnt(0) lgkmcnt(0)
	buffer_wbinvl1_vol
	s_and_saveexec_b64 s[42:43], vcc
	s_cbranch_execz .LBB4_1088
; %bb.1087:                             ;   in Loop: Header=BB4_587 Depth=1
	s_bcnt1_i32_b64 vcc_lo, s[44:45]
	v_mov_b32_e32 v52, vcc_lo
	ds_add_u64 v0, v[52:53]
	s_trap 2
.LBB4_1088:                             ;   in Loop: Header=BB4_587 Depth=1
	s_or_b64 exec, exec, s[42:43]
	s_trap 2
	ds_read_b64 v[0:1], v0
	v_accvgpr_read_b32 v2, a18
	v_accvgpr_read_b32 v3, a19
	v_add_co_u32_e32 v2, vcc, v2, v28
	v_addc_co_u32_e32 v3, vcc, 0, v3, vcc
	v_accvgpr_write_b32 a19, v3
	v_accvgpr_write_b32 a18, v2
	s_waitcnt lgkmcnt(0)
	v_cmp_lt_u64_e32 vcc, v[0:1], v[2:3]
	s_and_saveexec_b64 s[42:43], vcc
	s_cbranch_execz .LBB4_1097
; %bb.1089:                             ;   in Loop: Header=BB4_587 Depth=1
	s_mov_b32 s54, 0
	s_mov_b64 s[44:45], 0
                                        ; implicit-def: $sgpr46_sgpr47
                                        ; implicit-def: $sgpr48_sgpr49
	s_branch .LBB4_1091
.LBB4_1090:                             ;   in Loop: Header=BB4_1091 Depth=2
	s_or_b64 exec, exec, s[52:53]
	s_and_b64 vcc, exec, vcc
	s_or_b64 s[44:45], vcc, s[44:45]
	s_andn2_b64 vcc, s[46:47], exec
	s_and_b64 s[46:47], s[48:49], exec
	s_or_b64 s[46:47], vcc, s[46:47]
	s_andn2_b64 exec, exec, s[44:45]
	s_cbranch_execz .LBB4_1095
.LBB4_1091:                             ;   Parent Loop BB4_587 Depth=1
                                        ; =>  This Inner Loop Header: Depth=2
	s_add_i32 s54, s54, 1
	s_cmpk_lg_i32 s54, 0x2710
	s_cselect_b64 s[50:51], -1, 0
	s_and_b64 vcc, exec, s[50:51]
                                        ; implicit-def: $sgpr52_sgpr53
	s_cbranch_vccnz .LBB4_1093
; %bb.1092:                             ;   in Loop: Header=BB4_1091 Depth=2
	s_trap 2
	ds_read_b64 v[0:1], v0
	s_andn2_b64 s[50:51], s[50:51], exec
	s_mov_b32 s54, 0
	s_mov_b64 s[52:53], -1
	s_waitcnt lgkmcnt(0)
	flat_load_dword v0, v[0:1] glc
	s_waitcnt vmcnt(0) lgkmcnt(0)
	buffer_invl2
	buffer_wbinvl1_vol
	v_cmp_eq_u32_e32 vcc, 0, v0
	s_and_b64 vcc, vcc, exec
	s_or_b64 s[50:51], s[50:51], vcc
.LBB4_1093:                             ;   in Loop: Header=BB4_1091 Depth=2
	s_andn2_b64 s[48:49], s[48:49], exec
	s_and_b64 s[52:53], s[52:53], exec
	s_mov_b64 vcc, -1
	s_or_b64 s[48:49], s[48:49], s[52:53]
	s_and_saveexec_b64 s[52:53], s[50:51]
	s_cbranch_execz .LBB4_1090
; %bb.1094:                             ;   in Loop: Header=BB4_1091 Depth=2
	s_sleep 1
	s_trap 2
	ds_read_b64 v[0:1], v0
	v_accvgpr_read_b32 v2, a18
	v_accvgpr_read_b32 v3, a19
	s_andn2_b64 s[48:49], s[48:49], exec
	s_waitcnt lgkmcnt(0)
	v_cmp_ge_u64_e32 vcc, v[0:1], v[2:3]
	s_orn2_b64 vcc, vcc, exec
	s_branch .LBB4_1090
.LBB4_1095:                             ;   in Loop: Header=BB4_587 Depth=1
	s_or_b64 exec, exec, s[44:45]
	s_and_saveexec_b64 vcc, s[46:47]
	s_xor_b64 vcc, exec, vcc
	s_cbranch_execz .LBB4_1097
; %bb.1096:                             ;   in Loop: Header=BB4_587 Depth=1
	v_mov_b32_e32 v0, 1
	ds_write_b32 v0, v0
	s_trap 2
.LBB4_1097:                             ;   in Loop: Header=BB4_587 Depth=1
	s_or_b64 exec, exec, s[42:43]
	;;#ASMSTART
	s_wakeup
	;;#ASMEND
.LBB4_1098:                             ;   in Loop: Header=BB4_587 Depth=1
	s_or_b64 exec, exec, s[40:41]
.LBB4_1099:                             ;   in Loop: Header=BB4_587 Depth=1
	s_andn2_saveexec_b64 s[22:23], s[22:23]
	s_cbranch_execz .LBB4_1101
; %bb.1100:                             ;   in Loop: Header=BB4_587 Depth=1
	s_waitcnt vmcnt(0) lgkmcnt(0)
	buffer_wbinvl1_vol
	s_barrier
.LBB4_1101:                             ;   in Loop: Header=BB4_587 Depth=1
	s_or_b64 exec, exec, s[22:23]
.LBB4_1102:                             ;   in Loop: Header=BB4_587 Depth=1
	s_or_b64 exec, exec, s[18:19]
	s_trap 2
	ds_read_b32 v0, v0
	v_accvgpr_read_b32 v2, a46
	v_sub_u32_e32 v1, v2, v10
	v_min_i32_e32 v1, v22, v1
	v_cmp_lt_i32_e32 vcc, 0, v1
	s_waitcnt lgkmcnt(0)
	v_readfirstlane_b32 s18, v0
	s_cmp_eq_u32 s18, 0
	s_cselect_b64 s[18:19], -1, 0
	v_and_b32_e32 v0, 16, v62
	s_and_b64 s[18:19], vcc, s[18:19]
	v_cmp_ne_u32_e32 vcc, 0, v0
	s_and_b64 s[22:23], vcc, s[18:19]
	s_and_saveexec_b64 s[18:19], s[22:23]
	s_cbranch_execz .LBB4_1104
; %bb.1103:                             ;   in Loop: Header=BB4_587 Depth=1
	s_waitcnt vmcnt(0)
	buffer_wbinvl1_vol
.LBB4_1104:                             ;   in Loop: Header=BB4_587 Depth=1
	s_or_b64 exec, exec, s[18:19]
	v_and_b32_e32 v0, 32, v62
	v_cmp_ne_u32_e32 vcc, 0, v0
	s_and_saveexec_b64 s[18:19], vcc
	s_cbranch_execz .LBB4_585
; %bb.1105:                             ;   in Loop: Header=BB4_587 Depth=1
	v_add_co_u32_e32 v18, vcc, 1, v18
	v_addc_co_u32_e32 v19, vcc, 0, v19, vcc
	flat_store_dwordx2 v[42:43], v[18:19]
	s_branch .LBB4_585
.LBB4_1106:
	s_or_b64 exec, exec, s[36:37]
	v_accvgpr_read_b32 v56, a0
.LBB4_1107:
	s_or_b64 exec, exec, s[26:27]
.LBB4_1108:
	s_or_b64 exec, exec, s[24:25]
                                        ; implicit-def: $agpr4_agpr5
                                        ; implicit-def: $vgpr8_vgpr9
                                        ; implicit-def: $vgpr58_vgpr59
                                        ; implicit-def: $agpr14
                                        ; implicit-def: $vgpr46_vgpr47
                                        ; implicit-def: $agpr16_agpr17
                                        ; implicit-def: $vgpr42_vgpr43
                                        ; implicit-def: $vgpr0
                                        ; implicit-def: $vgpr1
                                        ; implicit-def: $agpr20_agpr21
.LBB4_1109:
	s_andn2_saveexec_b64 s[22:23], s[30:31]
	s_cbranch_execz .LBB4_1313
; %bb.1110:
	v_pk_mov_b32 v[2:3], 0, 0
	v_accvgpr_write_b32 a19, v3
	s_mov_b64 s[26:27], 0
	v_cmp_ne_u64_e32 vcc, 0, v[8:9]
	v_accvgpr_write_b32 a18, v2
	s_and_saveexec_b64 s[24:25], vcc
	s_cbranch_execz .LBB4_1312
; %bb.1111:
	v_ashrrev_i32_e32 v3, 31, v0
	v_and_b32_e32 v2, 63, v31
	v_lshrrev_b32_e32 v3, 26, v3
	v_cmp_eq_u32_e64 s[12:13], 0, v2
	v_lshrrev_b32_e32 v2, 6, v56
	v_add_u32_e32 v3, v0, v3
	s_waitcnt lgkmcnt(0)
	v_and_b32_e32 v4, 0xffffffc0, v3
	v_lshlrev_b32_e32 v21, 10, v2
	v_sub_u32_e32 v4, v0, v4
	v_add_u32_e32 v22, 0xfffffc00, v21
	s_movk_i32 s18, 0x400
	v_cmp_lt_i32_e64 s[16:17], v4, v1
	v_ashrrev_i32_e32 v1, 6, v3
	v_ashrrev_i32_e32 v3, 31, v22
	v_add_co_u32_e64 v23, s[18:19], s18, v22
	v_addc_co_u32_e64 v38, s[18:19], 0, v3, s[18:19]
	v_mov_b32_e32 v6, 0xfffffe00
	v_lshl_add_u32 v24, v2, 9, v6
	s_movk_i32 s18, 0x200
	v_ashrrev_i32_e32 v25, 31, v24
	v_add_co_u32_e64 v39, s[18:19], s18, v24
	v_addc_co_u32_e64 v48, s[18:19], 0, v25, s[18:19]
	v_lshlrev_b32_e32 v49, 7, v2
	v_add_u32_e32 v26, 0xffffff80, v49
	s_movk_i32 s18, 0x80
	s_lshr_b32 s6, s64, 27
	v_accvgpr_write_b32 a1, v27
	v_cmp_ne_u32_sdwa s[30:31], v27, v56 src0_sel:WORD_0 src1_sel:DWORD
	v_ashrrev_i32_e32 v27, 31, v26
	v_add_co_u32_e64 v50, s[18:19], s18, v26
	v_pk_mov_b32 v[28:29], 0, 0
	v_accvgpr_write_b32 a10, v16
	s_add_i32 s64, s64, s6
	v_cmp_eq_u32_e32 vcc, 64, v56
	v_lshlrev_b32_e32 v20, 4, v0
	v_addc_co_u32_e64 v51, s[18:19], 0, v27, s[18:19]
	v_accvgpr_write_b32 a18, v28
	v_accvgpr_read_b32 v10, a20
	v_accvgpr_write_b32 a11, v17
	v_accvgpr_write_b32 a12, v18
	;; [unrolled: 1-line block ×3, first 2 shown]
	s_ashr_i32 s58, s64, 5
	v_cmp_ge_i32_e64 s[6:7], v0, v56
	v_cmp_ne_u32_e64 s[10:11], 64, v56
	v_accvgpr_write_b32 a0, v31
	v_mov_b32_e32 v19, 0
	v_cmp_gt_i32_e64 s[14:15], 1, v4
	v_sub_u32_e32 v5, 0, v1
	v_ashrrev_i32_e32 v1, 31, v20
	v_cmp_ne_u64_e64 s[18:19], 0, v[58:59]
	s_movk_i32 s59, 0x270e
	v_mov_b32_e32 v52, 1
	s_xor_b64 s[34:35], vcc, -1
	v_accvgpr_write_b32 a19, v29
	v_accvgpr_read_b32 v11, a21
	s_trap 2
	s_branch .LBB4_1115
.LBB4_1112:                             ;   in Loop: Header=BB4_1115 Depth=1
	s_or_b64 exec, exec, vcc
	v_accvgpr_read_b32 v6, a10
	v_accvgpr_read_b32 v8, a12
	;; [unrolled: 1-line block ×3, first 2 shown]
	v_add_co_u32_e32 v8, vcc, 1, v8
	v_addc_co_u32_e32 v9, vcc, 0, v9, vcc
	v_accvgpr_read_b32 v7, a11
	v_accvgpr_write_b32 a13, v9
	v_accvgpr_write_b32 a12, v8
	;; [unrolled: 1-line block ×4, first 2 shown]
	flat_store_dwordx2 v[42:43], v[8:9]
.LBB4_1113:                             ;   in Loop: Header=BB4_1115 Depth=1
	s_or_b64 exec, exec, s[20:21]
.LBB4_1114:                             ;   in Loop: Header=BB4_1115 Depth=1
	s_or_b64 exec, exec, s[38:39]
	v_accvgpr_read_b32 v10, a20
	v_add_co_u32_e32 v28, vcc, v28, v10
	v_accvgpr_read_b32 v9, a3
	v_addc_co_u32_e32 v29, vcc, 0, v29, vcc
	v_accvgpr_read_b32 v8, a2
	v_cmp_ge_u64_e32 vcc, v[28:29], v[8:9]
	v_accvgpr_read_b32 v11, a21
	s_or_b64 s[26:27], vcc, s[26:27]
	s_andn2_b64 exec, exec, s[26:27]
	s_cbranch_execz .LBB4_1311
.LBB4_1115:                             ; =>This Loop Header: Depth=1
                                        ;     Child Loop BB4_1124 Depth 2
                                        ;     Child Loop BB4_1148 Depth 2
	;; [unrolled: 1-line block ×10, first 2 shown]
	v_sub_co_u32_e32 v6, vcc, v8, v28
	v_subb_co_u32_e32 v7, vcc, v9, v29, vcc
	v_cmp_lt_u64_e32 vcc, v[10:11], v[6:7]
	v_cndmask_b32_e64 v31, v7, 0, vcc
	v_cndmask_b32_e32 v30, v6, v10, vcc
	v_add_u32_e32 v6, 15, v30
	v_cmp_eq_u64_e32 vcc, 0, v[30:31]
	v_accvgpr_write_b32 a2, v8
	v_and_b32_e32 v6, 0x3ffffff0, v6
	s_or_b64 s[36:37], s[6:7], vcc
	v_accvgpr_write_b32 a3, v9
	v_max_i32_e32 v53, s58, v6
	s_xor_b64 s[20:21], s[36:37], -1
	v_mov_b32_e32 v12, 0
	s_and_saveexec_b64 s[38:39], s[20:21]
	s_cbranch_execz .LBB4_1264
; %bb.1116:                             ;   in Loop: Header=BB4_1115 Depth=1
	s_and_saveexec_b64 s[20:21], s[4:5]
	s_cbranch_execz .LBB4_1118
; %bb.1117:                             ;   in Loop: Header=BB4_1115 Depth=1
	s_trap 2
	ds_read_b64 v[6:7], v0
	v_accvgpr_read_b32 v9, a5
	v_accvgpr_read_b32 v8, a4
	v_lshlrev_b64 v[8:9], 1, v[8:9]
	v_mov_b32_e32 v18, v19
	s_waitcnt lgkmcnt(0)
	v_add_co_u32_e32 v8, vcc, v6, v8
	v_addc_co_u32_e32 v9, vcc, v7, v9, vcc
	v_lshlrev_b64 v[6:7], 1, v[28:29]
	v_add_co_u32_e32 v6, vcc, v8, v6
	v_addc_co_u32_e32 v7, vcc, v9, v7, vcc
	ds_write_b64 v0, v[6:7]
	ds_write_b64 v0, v[18:19]
.LBB4_1118:                             ;   in Loop: Header=BB4_1115 Depth=1
	s_or_b64 exec, exec, s[20:21]
	v_and_b32_e32 v6, 8, v62
	v_cmp_ne_u32_e32 vcc, 0, v6
	s_mov_b64 s[40:41], -1
	s_and_saveexec_b64 s[20:21], vcc
	s_cbranch_execz .LBB4_1130
; %bb.1119:                             ;   in Loop: Header=BB4_1115 Depth=1
	v_add_co_u32_e32 v6, vcc, 8, v46
	v_accvgpr_read_b32 v8, a10
	v_addc_co_u32_e32 v7, vcc, 0, v47, vcc
	v_accvgpr_read_b32 v10, a12
	v_accvgpr_read_b32 v11, a13
	v_add_co_u32_e32 v10, vcc, 1, v10
	v_addc_co_u32_e32 v11, vcc, 0, v11, vcc
	v_cmp_lt_u64_e32 vcc, v[6:7], v[10:11]
	v_mov_b32_e32 v6, 1
	v_accvgpr_read_b32 v9, a11
	s_and_saveexec_b64 s[40:41], vcc
	s_cbranch_execz .LBB4_1129
; %bb.1120:                             ;   in Loop: Header=BB4_1115 Depth=1
	s_mov_b64 s[42:43], 0
	v_mov_b32_e32 v6, 0
                                        ; implicit-def: $sgpr44_sgpr45
	s_branch .LBB4_1124
.LBB4_1121:                             ;   in Loop: Header=BB4_1124 Depth=2
	s_or_b64 exec, exec, s[52:53]
	v_mov_b32_e32 v7, 0
	s_orn2_b64 s[50:51], s[50:51], exec
.LBB4_1122:                             ;   in Loop: Header=BB4_1124 Depth=2
	s_or_b64 exec, exec, s[48:49]
	s_andn2_b64 vcc, s[44:45], exec
	s_and_b64 s[44:45], s[50:51], exec
	s_or_b64 s[44:45], vcc, s[44:45]
	v_mov_b32_e32 v6, v7
.LBB4_1123:                             ;   in Loop: Header=BB4_1124 Depth=2
	s_or_b64 exec, exec, s[46:47]
	s_waitcnt vmcnt(0) lgkmcnt(0)
	v_add_co_u32_e32 v8, vcc, 8, v46
	v_addc_co_u32_e32 v9, vcc, 0, v47, vcc
	v_cmp_ge_u64_e32 vcc, v[8:9], v[10:11]
	s_xor_b64 s[46:47], s[44:45], -1
	s_or_b64 vcc, s[46:47], vcc
	s_and_b64 vcc, exec, vcc
	s_or_b64 s[42:43], vcc, s[42:43]
	s_andn2_b64 exec, exec, s[42:43]
	s_cbranch_execz .LBB4_1128
.LBB4_1124:                             ;   Parent Loop BB4_1115 Depth=1
                                        ; =>  This Inner Loop Header: Depth=2
	s_sleep 1
	flat_load_dwordx2 v[46:47], v[42:43] glc
	v_and_b32_e32 v7, 64, v62
	v_cmp_eq_u32_e32 vcc, 0, v7
	s_andn2_b64 s[44:45], s[44:45], exec
	s_and_saveexec_b64 s[46:47], vcc
	s_cbranch_execz .LBB4_1123
; %bb.1125:                             ;   in Loop: Header=BB4_1124 Depth=2
	v_add_u32_e32 v7, 1, v6
	v_cmp_lt_i32_e32 vcc, s59, v6
	s_mov_b64 s[50:51], -1
	s_and_saveexec_b64 s[48:49], vcc
	s_cbranch_execz .LBB4_1122
; %bb.1126:                             ;   in Loop: Header=BB4_1124 Depth=2
	s_trap 2
	ds_read_b64 v[6:7], v0
	s_waitcnt vmcnt(0) lgkmcnt(0)
	flat_load_dword v6, v[6:7] glc
	s_waitcnt vmcnt(0) lgkmcnt(0)
	buffer_invl2
	buffer_wbinvl1_vol
	v_cmp_ne_u32_e32 vcc, 0, v6
	s_and_saveexec_b64 s[52:53], vcc
	s_cbranch_execz .LBB4_1121
; %bb.1127:                             ;   in Loop: Header=BB4_1124 Depth=2
	v_or_b32_e32 v62, 64, v62
	s_xor_b64 s[50:51], exec, -1
	ds_write_b32 v0, v6
	s_trap 2
	s_branch .LBB4_1121
.LBB4_1128:                             ;   in Loop: Header=BB4_1115 Depth=1
	s_or_b64 exec, exec, s[42:43]
	v_and_b32_e32 v6, 8, v62
.LBB4_1129:                             ;   in Loop: Header=BB4_1115 Depth=1
	s_or_b64 exec, exec, s[40:41]
	v_cmp_eq_u32_e32 vcc, 0, v6
	s_orn2_b64 s[40:41], vcc, exec
	;;#ASMSTART
	s_wakeup
	;;#ASMEND
.LBB4_1130:                             ;   in Loop: Header=BB4_1115 Depth=1
	s_or_b64 exec, exec, s[20:21]
	s_xor_b64 s[20:21], s[40:41], -1
	v_min_u32_e32 v53, v53, v30
	s_and_saveexec_b64 s[40:41], s[20:21]
	s_cbranch_execz .LBB4_1140
; %bb.1131:                             ;   in Loop: Header=BB4_1115 Depth=1
	v_and_b32_e32 v6, 0x100, v62
	v_cmp_ne_u32_e32 vcc, 0, v6
	v_accvgpr_read_b32 v6, a10
	v_accvgpr_read_b32 v8, a12
	v_and_b32_e32 v6, 7, v8
	s_mov_b64 s[20:21], -1
	v_accvgpr_read_b32 v7, a11
	v_accvgpr_read_b32 v9, a13
                                        ; implicit-def: $vgpr10_vgpr11
	s_and_saveexec_b64 s[42:43], vcc
	s_cbranch_execz .LBB4_1135
; %bb.1132:                             ;   in Loop: Header=BB4_1115 Depth=1
	v_accvgpr_read_b32 v8, a10
	v_accvgpr_read_b32 v9, a11
	v_mad_u64_u32 v[12:13], s[20:21], v6, 24, v[8:9]
	flat_load_dword v7, v[12:13]
	v_accvgpr_read_b32 v10, a12
	v_accvgpr_read_b32 v11, a13
	v_lshlrev_b32_e32 v18, 1, v53
	flat_store_dwordx2 v[12:13], v[18:19] offset:8
                                        ; implicit-def: $vgpr10_vgpr11
	s_waitcnt vmcnt(0) lgkmcnt(0)
	v_cmp_ne_u32_e32 vcc, 1, v7
	v_cmp_eq_u32_e64 s[20:21], 1, v7
	s_and_saveexec_b64 s[44:45], s[20:21]
	s_cbranch_execz .LBB4_1134
; %bb.1133:                             ;   in Loop: Header=BB4_1115 Depth=1
	flat_load_dword v8, v[12:13] offset:4 glc
	s_waitcnt vmcnt(0) lgkmcnt(0)
	v_ashrrev_i32_e32 v9, 31, v8
	v_lshrrev_b64 v[10:11], 1, v[8:9]
.LBB4_1134:                             ;   in Loop: Header=BB4_1115 Depth=1
	s_or_b64 exec, exec, s[44:45]
	s_orn2_b64 s[20:21], vcc, exec
.LBB4_1135:                             ;   in Loop: Header=BB4_1115 Depth=1
	s_or_b64 exec, exec, s[42:43]
	s_and_saveexec_b64 vcc, s[20:21]
; %bb.1136:                             ;   in Loop: Header=BB4_1115 Depth=1
	v_accvgpr_read_b32 v8, a14
	v_mad_i64_i32 v[10:11], s[20:21], v6, v8, 0
; %bb.1137:                             ;   in Loop: Header=BB4_1115 Depth=1
	s_or_b64 exec, exec, vcc
	v_lshlrev_b64 v[6:7], 1, v[10:11]
	v_accvgpr_read_b32 v8, a16
	v_accvgpr_read_b32 v9, a17
	v_add_co_u32_e32 v6, vcc, v8, v6
	v_addc_co_u32_e32 v7, vcc, v9, v7, vcc
	ds_write_b64 v0, v[6:7] offset:784
	v_and_b32_e32 v6, 0x2000, v62
	v_cmp_ne_u32_e32 vcc, 0, v6
	s_and_saveexec_b64 s[20:21], vcc
	s_cbranch_execz .LBB4_1139
; %bb.1138:                             ;   in Loop: Header=BB4_1115 Depth=1
	ds_read_b64 v[6:7], v0 offset:584
	s_waitcnt lgkmcnt(0)
	v_add_co_u32_e32 v6, vcc, 1, v6
	v_addc_co_u32_e32 v7, vcc, 0, v7, vcc
	ds_write_b64 v0, v[6:7] offset:584
.LBB4_1139:                             ;   in Loop: Header=BB4_1115 Depth=1
	s_or_b64 exec, exec, s[20:21]
	v_accvgpr_read_b32 v6, a10
	v_accvgpr_read_b32 v8, a12
	;; [unrolled: 1-line block ×3, first 2 shown]
	v_add_co_u32_e32 v8, vcc, 1, v8
	v_addc_co_u32_e32 v9, vcc, 0, v9, vcc
	v_accvgpr_read_b32 v7, a11
	v_accvgpr_write_b32 a13, v9
	v_accvgpr_write_b32 a12, v8
	;; [unrolled: 1-line block ×4, first 2 shown]
.LBB4_1140:                             ;   in Loop: Header=BB4_1115 Depth=1
	s_or_b64 exec, exec, s[40:41]
	s_and_saveexec_b64 s[20:21], s[10:11]
	s_cbranch_execz .LBB4_1159
; %bb.1141:                             ;   in Loop: Header=BB4_1115 Depth=1
	s_and_saveexec_b64 vcc, s[30:31]
	s_xor_b64 s[40:41], exec, vcc
	s_cbranch_execz .LBB4_1156
; %bb.1142:                             ;   in Loop: Header=BB4_1115 Depth=1
	s_and_saveexec_b64 s[42:43], s[12:13]
	s_cbranch_execz .LBB4_1155
; %bb.1143:                             ;   in Loop: Header=BB4_1115 Depth=1
	s_mov_b64 s[46:47], exec
	v_mbcnt_lo_u32_b32 v6, s46, 0
	v_mbcnt_hi_u32_b32 v6, s47, v6
	v_cmp_eq_u32_e32 vcc, 0, v6
	s_waitcnt vmcnt(0) lgkmcnt(0)
	buffer_wbinvl1_vol
	s_and_saveexec_b64 s[44:45], vcc
	s_cbranch_execz .LBB4_1145
; %bb.1144:                             ;   in Loop: Header=BB4_1115 Depth=1
	s_bcnt1_i32_b64 vcc_lo, s[46:47]
	v_mov_b32_e32 v18, vcc_lo
	ds_add_u64 v0, v[18:19]
	s_trap 2
.LBB4_1145:                             ;   in Loop: Header=BB4_1115 Depth=1
	s_or_b64 exec, exec, s[44:45]
	s_trap 2
	ds_read_b64 v[6:7], v0
	v_accvgpr_read_b32 v8, a18
	v_accvgpr_read_b32 v9, a19
	v_add_co_u32_e32 v8, vcc, v8, v2
	v_addc_co_u32_e32 v9, vcc, 0, v9, vcc
	v_accvgpr_write_b32 a19, v9
	v_accvgpr_write_b32 a18, v8
	s_waitcnt lgkmcnt(0)
	v_cmp_lt_u64_e32 vcc, v[6:7], v[8:9]
	s_and_saveexec_b64 s[44:45], vcc
	s_cbranch_execz .LBB4_1154
; %bb.1146:                             ;   in Loop: Header=BB4_1115 Depth=1
	s_mov_b32 s56, 0
	s_mov_b64 s[46:47], 0
                                        ; implicit-def: $sgpr48_sgpr49
                                        ; implicit-def: $sgpr50_sgpr51
	s_branch .LBB4_1148
.LBB4_1147:                             ;   in Loop: Header=BB4_1148 Depth=2
	s_or_b64 exec, exec, s[54:55]
	s_and_b64 vcc, exec, vcc
	s_or_b64 s[46:47], vcc, s[46:47]
	s_andn2_b64 vcc, s[48:49], exec
	s_and_b64 s[48:49], s[50:51], exec
	s_or_b64 s[48:49], vcc, s[48:49]
	s_andn2_b64 exec, exec, s[46:47]
	s_cbranch_execz .LBB4_1152
.LBB4_1148:                             ;   Parent Loop BB4_1115 Depth=1
                                        ; =>  This Inner Loop Header: Depth=2
	s_add_i32 s56, s56, 1
	s_cmpk_lg_i32 s56, 0x2710
	s_cselect_b64 s[52:53], -1, 0
	s_and_b64 vcc, exec, s[52:53]
                                        ; implicit-def: $sgpr54_sgpr55
	s_cbranch_vccnz .LBB4_1150
; %bb.1149:                             ;   in Loop: Header=BB4_1148 Depth=2
	s_trap 2
	ds_read_b64 v[6:7], v0
	s_andn2_b64 s[52:53], s[52:53], exec
	s_mov_b32 s56, 0
	s_mov_b64 s[54:55], -1
	s_waitcnt lgkmcnt(0)
	flat_load_dword v6, v[6:7] glc
	s_waitcnt vmcnt(0) lgkmcnt(0)
	buffer_invl2
	buffer_wbinvl1_vol
	v_cmp_eq_u32_e32 vcc, 0, v6
	s_and_b64 vcc, vcc, exec
	s_or_b64 s[52:53], s[52:53], vcc
.LBB4_1150:                             ;   in Loop: Header=BB4_1148 Depth=2
	s_andn2_b64 s[50:51], s[50:51], exec
	s_and_b64 s[54:55], s[54:55], exec
	s_mov_b64 vcc, -1
	s_or_b64 s[50:51], s[50:51], s[54:55]
	s_and_saveexec_b64 s[54:55], s[52:53]
	s_cbranch_execz .LBB4_1147
; %bb.1151:                             ;   in Loop: Header=BB4_1148 Depth=2
	s_sleep 1
	s_trap 2
	ds_read_b64 v[6:7], v0
	v_accvgpr_read_b32 v8, a18
	v_accvgpr_read_b32 v9, a19
	s_andn2_b64 s[50:51], s[50:51], exec
	s_waitcnt lgkmcnt(0)
	v_cmp_ge_u64_e32 vcc, v[6:7], v[8:9]
	s_orn2_b64 vcc, vcc, exec
	s_branch .LBB4_1147
.LBB4_1152:                             ;   in Loop: Header=BB4_1115 Depth=1
	s_or_b64 exec, exec, s[46:47]
	s_and_saveexec_b64 vcc, s[48:49]
	s_xor_b64 vcc, exec, vcc
	s_cbranch_execz .LBB4_1154
; %bb.1153:                             ;   in Loop: Header=BB4_1115 Depth=1
	ds_write_b32 v0, v52
	s_trap 2
.LBB4_1154:                             ;   in Loop: Header=BB4_1115 Depth=1
	s_or_b64 exec, exec, s[44:45]
	;;#ASMSTART
	s_wakeup
	;;#ASMEND
.LBB4_1155:                             ;   in Loop: Header=BB4_1115 Depth=1
	s_or_b64 exec, exec, s[42:43]
.LBB4_1156:                             ;   in Loop: Header=BB4_1115 Depth=1
	s_andn2_saveexec_b64 vcc, s[40:41]
	s_cbranch_execz .LBB4_1158
; %bb.1157:                             ;   in Loop: Header=BB4_1115 Depth=1
	s_waitcnt vmcnt(0) lgkmcnt(0)
	buffer_wbinvl1_vol
	s_barrier
.LBB4_1158:                             ;   in Loop: Header=BB4_1115 Depth=1
	s_or_b64 exec, exec, vcc
.LBB4_1159:                             ;   in Loop: Header=BB4_1115 Depth=1
	s_or_b64 exec, exec, s[20:21]
	s_trap 2
	ds_read_b32 v10, v0
	v_and_b32_e32 v6, 0x4000, v62
	v_cmp_ne_u32_e32 vcc, 0, v6
	s_and_b64 vcc, s[34:35], vcc
	s_and_saveexec_b64 s[20:21], vcc
	s_cbranch_execz .LBB4_1178
; %bb.1160:                             ;   in Loop: Header=BB4_1115 Depth=1
	s_and_saveexec_b64 vcc, s[30:31]
	s_xor_b64 s[40:41], exec, vcc
	s_cbranch_execz .LBB4_1175
; %bb.1161:                             ;   in Loop: Header=BB4_1115 Depth=1
	s_and_saveexec_b64 s[42:43], s[12:13]
	s_cbranch_execz .LBB4_1174
; %bb.1162:                             ;   in Loop: Header=BB4_1115 Depth=1
	s_mov_b64 s[46:47], exec
	v_mbcnt_lo_u32_b32 v6, s46, 0
	v_mbcnt_hi_u32_b32 v6, s47, v6
	v_cmp_eq_u32_e32 vcc, 0, v6
	s_waitcnt vmcnt(0) lgkmcnt(0)
	buffer_wbinvl1_vol
	s_and_saveexec_b64 s[44:45], vcc
	s_cbranch_execz .LBB4_1164
; %bb.1163:                             ;   in Loop: Header=BB4_1115 Depth=1
	s_bcnt1_i32_b64 vcc_lo, s[46:47]
	v_mov_b32_e32 v18, vcc_lo
	ds_add_u64 v0, v[18:19]
	s_trap 2
.LBB4_1164:                             ;   in Loop: Header=BB4_1115 Depth=1
	s_or_b64 exec, exec, s[44:45]
	s_trap 2
	ds_read_b64 v[6:7], v0
	v_accvgpr_read_b32 v8, a18
	v_accvgpr_read_b32 v9, a19
	v_add_co_u32_e32 v8, vcc, v8, v2
	v_addc_co_u32_e32 v9, vcc, 0, v9, vcc
	v_accvgpr_write_b32 a19, v9
	v_accvgpr_write_b32 a18, v8
	s_waitcnt lgkmcnt(0)
	v_cmp_lt_u64_e32 vcc, v[6:7], v[8:9]
	s_and_saveexec_b64 s[44:45], vcc
	s_cbranch_execz .LBB4_1173
; %bb.1165:                             ;   in Loop: Header=BB4_1115 Depth=1
	s_mov_b32 s56, 0
	s_mov_b64 s[46:47], 0
                                        ; implicit-def: $sgpr48_sgpr49
                                        ; implicit-def: $sgpr50_sgpr51
	s_branch .LBB4_1167
.LBB4_1166:                             ;   in Loop: Header=BB4_1167 Depth=2
	s_or_b64 exec, exec, s[54:55]
	s_and_b64 vcc, exec, vcc
	s_or_b64 s[46:47], vcc, s[46:47]
	s_andn2_b64 vcc, s[48:49], exec
	s_and_b64 s[48:49], s[50:51], exec
	s_or_b64 s[48:49], vcc, s[48:49]
	s_andn2_b64 exec, exec, s[46:47]
	s_cbranch_execz .LBB4_1171
.LBB4_1167:                             ;   Parent Loop BB4_1115 Depth=1
                                        ; =>  This Inner Loop Header: Depth=2
	s_add_i32 s56, s56, 1
	s_cmpk_lg_i32 s56, 0x2710
	s_cselect_b64 s[52:53], -1, 0
	s_and_b64 vcc, exec, s[52:53]
                                        ; implicit-def: $sgpr54_sgpr55
	s_cbranch_vccnz .LBB4_1169
; %bb.1168:                             ;   in Loop: Header=BB4_1167 Depth=2
	s_trap 2
	ds_read_b64 v[6:7], v0
	s_andn2_b64 s[52:53], s[52:53], exec
	s_mov_b32 s56, 0
	s_mov_b64 s[54:55], -1
	s_waitcnt lgkmcnt(0)
	flat_load_dword v6, v[6:7] glc
	s_waitcnt vmcnt(0) lgkmcnt(0)
	buffer_invl2
	buffer_wbinvl1_vol
	v_cmp_eq_u32_e32 vcc, 0, v6
	s_and_b64 vcc, vcc, exec
	s_or_b64 s[52:53], s[52:53], vcc
.LBB4_1169:                             ;   in Loop: Header=BB4_1167 Depth=2
	s_andn2_b64 s[50:51], s[50:51], exec
	s_and_b64 s[54:55], s[54:55], exec
	s_mov_b64 vcc, -1
	s_or_b64 s[50:51], s[50:51], s[54:55]
	s_and_saveexec_b64 s[54:55], s[52:53]
	s_cbranch_execz .LBB4_1166
; %bb.1170:                             ;   in Loop: Header=BB4_1167 Depth=2
	s_sleep 1
	s_trap 2
	ds_read_b64 v[6:7], v0
	v_accvgpr_read_b32 v8, a18
	v_accvgpr_read_b32 v9, a19
	s_andn2_b64 s[50:51], s[50:51], exec
	s_waitcnt lgkmcnt(0)
	v_cmp_ge_u64_e32 vcc, v[6:7], v[8:9]
	s_orn2_b64 vcc, vcc, exec
	s_branch .LBB4_1166
.LBB4_1171:                             ;   in Loop: Header=BB4_1115 Depth=1
	s_or_b64 exec, exec, s[46:47]
	s_and_saveexec_b64 vcc, s[48:49]
	s_xor_b64 vcc, exec, vcc
	s_cbranch_execz .LBB4_1173
; %bb.1172:                             ;   in Loop: Header=BB4_1115 Depth=1
	ds_write_b32 v0, v52
	s_trap 2
.LBB4_1173:                             ;   in Loop: Header=BB4_1115 Depth=1
	s_or_b64 exec, exec, s[44:45]
	;;#ASMSTART
	s_wakeup
	;;#ASMEND
.LBB4_1174:                             ;   in Loop: Header=BB4_1115 Depth=1
	s_or_b64 exec, exec, s[42:43]
.LBB4_1175:                             ;   in Loop: Header=BB4_1115 Depth=1
	s_andn2_saveexec_b64 vcc, s[40:41]
	s_cbranch_execz .LBB4_1177
; %bb.1176:                             ;   in Loop: Header=BB4_1115 Depth=1
	s_waitcnt vmcnt(0) lgkmcnt(0)
	buffer_wbinvl1_vol
	s_barrier
.LBB4_1177:                             ;   in Loop: Header=BB4_1115 Depth=1
	s_or_b64 exec, exec, vcc
.LBB4_1178:                             ;   in Loop: Header=BB4_1115 Depth=1
	s_or_b64 exec, exec, s[20:21]
	s_trap 2
	ds_read_b64 v[6:7], v0
	s_waitcnt lgkmcnt(0)
	v_readfirstlane_b32 s20, v6
	v_readfirstlane_b32 s21, v7
	s_cmp_eq_u64 s[20:21], 0
	s_cselect_b64 s[20:21], -1, 0
	s_or_b64 vcc, s[20:21], s[20:21]
	s_mov_b64 s[20:21], 0
	s_and_b64 vcc, exec, vcc
	s_cbranch_vccnz .LBB4_1238
; %bb.1179:                             ;   in Loop: Header=BB4_1115 Depth=1
	s_mov_b64 s[20:21], -1
	s_and_saveexec_b64 s[40:41], s[14:15]
	s_cbranch_execz .LBB4_1181
; %bb.1180:                             ;   in Loop: Header=BB4_1115 Depth=1
	ds_read_b32 v6, v0 offset:720
	s_waitcnt lgkmcnt(0)
	v_and_b32_e32 v6, 15, v6
	v_cmp_eq_u32_e32 vcc, 0, v6
	s_orn2_b64 s[20:21], vcc, exec
.LBB4_1181:                             ;   in Loop: Header=BB4_1115 Depth=1
	s_or_b64 exec, exec, s[40:41]
	s_and_saveexec_b64 s[40:41], s[16:17]
	s_cbranch_execz .LBB4_1183
; %bb.1182:                             ;   in Loop: Header=BB4_1115 Depth=1
	ds_read_b32 v6, v0 offset:784
	s_waitcnt lgkmcnt(0)
	v_and_b32_e32 v6, 15, v6
	v_cmp_eq_u32_e32 vcc, 0, v6
	s_and_b64 vcc, s[20:21], vcc
	s_andn2_b64 s[20:21], s[20:21], exec
	s_and_b64 vcc, vcc, exec
	s_or_b64 s[20:21], s[20:21], vcc
.LBB4_1183:                             ;   in Loop: Header=BB4_1115 Depth=1
	s_or_b64 exec, exec, s[40:41]
	s_xor_b64 s[20:21], s[20:21], -1
	v_cndmask_b32_e64 v6, 0, 1, s[20:21]
	;;#ASMSTART
	;;#ASMEND
	s_trap 2
	ds_read_b64 v[32:33], v0
	v_cmp_eq_u32_e32 vcc, 0, v10
	v_cndmask_b32_e32 v18, 0, v53, vcc
	v_lshlrev_b32_e32 v31, 1, v18
	s_mov_b64 s[20:21], -1
	v_cmp_ne_u32_e32 vcc, 0, v6
	s_cbranch_vccz .LBB4_1194
; %bb.1184:                             ;   in Loop: Header=BB4_1115 Depth=1
	s_mov_b64 s[40:41], -1
	s_mov_b32 s42, 0
	s_cbranch_execnz .LBB4_1195
.LBB4_1185:                             ;   in Loop: Header=BB4_1115 Depth=1
	v_lshrrev_b32_e32 v6, 9, v18
	v_lshlrev_b32_e32 v54, 10, v6
	v_sub_u32_e32 v41, v31, v54
	v_cmp_lt_i32_e64 s[20:21], 15, v41
	v_addc_co_u32_e64 v40, vcc, v6, v5, s[20:21]
	s_waitcnt lgkmcnt(0)
	v_add_co_u32_e32 v34, vcc, v32, v20
	v_sub_u32_e32 v55, v31, v20
	v_addc_co_u32_e32 v35, vcc, v33, v1, vcc
	v_cmp_lt_i32_e32 vcc, 15, v55
	s_mov_b64 s[44:45], 0
                                        ; implicit-def: $vgpr10_vgpr11
	s_and_saveexec_b64 s[42:43], vcc
	s_cbranch_execz .LBB4_1197
; %bb.1186:                             ;   in Loop: Header=BB4_1115 Depth=1
	s_trap 2
	ds_read_b64 v[6:7], v0
	s_mov_b64 s[48:49], 0
                                        ; implicit-def: $sgpr46_sgpr47
                                        ; implicit-def: $vgpr10_vgpr11
	s_waitcnt lgkmcnt(0)
	v_add_co_u32_e32 v36, vcc, v6, v20
	v_addc_co_u32_e32 v37, vcc, v7, v1, vcc
	s_branch .LBB4_1188
.LBB4_1187:                             ;   in Loop: Header=BB4_1188 Depth=2
	s_or_b64 exec, exec, s[50:51]
	v_cmp_gt_i32_e32 vcc, 16, v55
	s_or_b64 s[44:45], vcc, s[44:45]
	s_andn2_b64 vcc, s[46:47], exec
	s_and_b64 s[46:47], s[48:49], exec
	s_or_b64 s[46:47], vcc, s[46:47]
	s_andn2_b64 exec, exec, s[44:45]
	s_cbranch_execz .LBB4_1196
.LBB4_1188:                             ;   Parent Loop BB4_1115 Depth=1
                                        ; =>  This Inner Loop Header: Depth=2
	global_load_dwordx4 v[14:17], v[36:37], off glc slc
	s_and_saveexec_b64 s[50:51], s[48:49]
	s_cbranch_execz .LBB4_1190
; %bb.1189:                             ;   in Loop: Header=BB4_1188 Depth=2
	v_add_co_u32_e32 v6, vcc, v34, v23
	v_addc_co_u32_e32 v7, vcc, v35, v38, vcc
	global_store_dwordx4 v[34:35], v[10:13], off glc slc
	v_pk_mov_b32 v[34:35], v[6:7], v[6:7] op_sel:[0,1]
.LBB4_1190:                             ;   in Loop: Header=BB4_1188 Depth=2
	s_or_b64 exec, exec, s[50:51]
	v_add_co_u32_e32 v36, vcc, v36, v23
	v_sub_u32_e32 v55, v55, v21
	v_addc_co_u32_e32 v37, vcc, v37, v38, vcc
	v_cmp_lt_i32_e64 s[48:49], 15, v55
	s_and_saveexec_b64 s[50:51], s[48:49]
	s_cbranch_execz .LBB4_1192
; %bb.1191:                             ;   in Loop: Header=BB4_1188 Depth=2
	global_load_dwordx4 v[10:13], v[36:37], off glc slc
	v_add_co_u32_e32 v36, vcc, 0x400, v36
	v_addc_co_u32_e32 v37, vcc, 0, v37, vcc
.LBB4_1192:                             ;   in Loop: Header=BB4_1188 Depth=2
	s_or_b64 exec, exec, s[50:51]
	s_waitcnt vmcnt(0)
	global_store_dwordx4 v[34:35], v[14:17], off glc slc
	v_add_co_u32_e32 v34, vcc, 0x400, v34
	v_sub_u32_e32 v40, v40, v2
	v_addc_co_u32_e32 v35, vcc, 0, v35, vcc
	s_and_saveexec_b64 s[50:51], s[48:49]
	s_cbranch_execz .LBB4_1187
; %bb.1193:                             ;   in Loop: Header=BB4_1188 Depth=2
	v_add_co_u32_e32 v34, vcc, v34, v22
	v_addc_co_u32_e32 v35, vcc, v35, v3, vcc
	v_add_co_u32_e32 v36, vcc, v36, v22
	v_addc_co_u32_e32 v37, vcc, v37, v3, vcc
	v_sub_u32_e32 v55, v55, v21
	v_sub_u32_e32 v40, v40, v2
	s_branch .LBB4_1187
.LBB4_1194:                             ;   in Loop: Header=BB4_1115 Depth=1
	s_mov_b64 s[40:41], 0
                                        ; implicit-def: $sgpr42
	s_andn2_b64 vcc, exec, s[20:21]
	s_cbranch_vccz .LBB4_1185
.LBB4_1195:                             ;   in Loop: Header=BB4_1115 Depth=1
	v_mov_b32_e32 v16, s42
	v_mov_b32_e32 v6, v0
	;; [unrolled: 1-line block ×3, first 2 shown]
	s_and_saveexec_b64 s[20:21], s[40:41]
	s_cbranch_execnz .LBB4_1216
	s_branch .LBB4_1237
.LBB4_1196:                             ;   in Loop: Header=BB4_1115 Depth=1
	s_or_b64 exec, exec, s[44:45]
	s_and_b64 s[44:45], s[46:47], exec
.LBB4_1197:                             ;   in Loop: Header=BB4_1115 Depth=1
	s_or_b64 exec, exec, s[42:43]
	s_and_saveexec_b64 vcc, s[44:45]
	s_cbranch_execz .LBB4_1199
; %bb.1198:                             ;   in Loop: Header=BB4_1115 Depth=1
	global_store_dwordx4 v[34:35], v[10:13], off glc slc
.LBB4_1199:                             ;   in Loop: Header=BB4_1115 Depth=1
	s_or_b64 exec, exec, vcc
	v_and_b32_e32 v7, 14, v31
	v_cndmask_b32_e64 v55, v41, v7, s[20:21]
	v_cmp_ne_u32_e32 vcc, 0, v55
                                        ; implicit-def: $vgpr31
                                        ; implicit-def: $vgpr16
                                        ; implicit-def: $vgpr6
                                        ; implicit-def: $vgpr17
	s_and_saveexec_b64 s[42:43], vcc
	s_cbranch_execz .LBB4_1215
; %bb.1200:                             ;   in Loop: Header=BB4_1115 Depth=1
	v_sub_u32_e32 v6, v41, v7
	v_cndmask_b32_e64 v6, 0, v6, s[20:21]
	v_cmp_lt_i32_e32 vcc, 0, v40
	v_add_u32_e32 v54, v6, v54
	v_cndmask_b32_e32 v6, 0, v2, vcc
	v_sub_u32_e32 v6, v6, v40
	v_lshl_add_u32 v6, v6, 6, v4
	v_ashrrev_i32_e32 v7, 31, v6
	v_lshrrev_b32_e32 v7, 26, v7
	v_add_u32_e32 v7, v6, v7
	v_ashrrev_i32_e32 v8, 6, v7
	v_and_b32_e32 v7, 0xffffffc0, v7
	v_sub_u32_e32 v40, v6, v7
	v_lshlrev_b32_e32 v6, 4, v40
	v_lshl_add_u32 v6, v8, 10, v6
	v_add_u32_e32 v12, v6, v54
	v_sub_u32_e32 v31, v55, v6
	v_ashrrev_i32_e32 v6, 31, v55
	v_lshrrev_b32_e32 v6, 22, v6
	v_add_u32_e32 v6, v55, v6
	v_and_b32_e32 v41, 0xfffffc00, v6
	v_sub_u32_e32 v45, v55, v41
	v_ashrrev_i32_e32 v7, 10, v6
	v_cmp_lt_i32_e64 s[20:21], 15, v45
	v_addc_co_u32_e64 v6, vcc, 0, v7, s[20:21]
	v_ashrrev_i32_e32 v13, 31, v12
	v_add_co_u32_e32 v34, vcc, v12, v32
	v_addc_co_u32_e32 v35, vcc, v13, v33, vcc
	v_sub_u32_e32 v44, v6, v8
	v_cmp_lt_i32_e32 vcc, 15, v31
	s_mov_b64 s[46:47], 0
                                        ; implicit-def: $vgpr10_vgpr11
	s_and_saveexec_b64 s[44:45], vcc
	s_cbranch_execz .LBB4_1210
; %bb.1201:                             ;   in Loop: Header=BB4_1115 Depth=1
	s_trap 2
	ds_read_b64 v[6:7], v0
	s_mov_b64 s[50:51], 0
                                        ; implicit-def: $sgpr48_sgpr49
                                        ; implicit-def: $vgpr10_vgpr11
	s_waitcnt lgkmcnt(0)
	v_add_co_u32_e32 v36, vcc, v6, v12
	v_addc_co_u32_e32 v37, vcc, v7, v13, vcc
	s_branch .LBB4_1203
.LBB4_1202:                             ;   in Loop: Header=BB4_1203 Depth=2
	s_or_b64 exec, exec, s[52:53]
	v_cmp_gt_i32_e32 vcc, 16, v31
	s_or_b64 s[46:47], vcc, s[46:47]
	s_andn2_b64 vcc, s[48:49], exec
	s_and_b64 s[48:49], s[50:51], exec
	s_or_b64 s[48:49], vcc, s[48:49]
	s_andn2_b64 exec, exec, s[46:47]
	s_cbranch_execz .LBB4_1209
.LBB4_1203:                             ;   Parent Loop BB4_1115 Depth=1
                                        ; =>  This Inner Loop Header: Depth=2
	global_load_dwordx4 v[14:17], v[36:37], off glc slc
	s_and_saveexec_b64 s[52:53], s[50:51]
	s_cbranch_execz .LBB4_1205
; %bb.1204:                             ;   in Loop: Header=BB4_1203 Depth=2
	v_add_co_u32_e32 v6, vcc, v34, v23
	v_addc_co_u32_e32 v7, vcc, v35, v38, vcc
	global_store_dwordx4 v[34:35], v[10:13], off glc slc
	v_pk_mov_b32 v[34:35], v[6:7], v[6:7] op_sel:[0,1]
.LBB4_1205:                             ;   in Loop: Header=BB4_1203 Depth=2
	s_or_b64 exec, exec, s[52:53]
	v_add_co_u32_e32 v36, vcc, v36, v23
	v_sub_u32_e32 v31, v31, v21
	v_addc_co_u32_e32 v37, vcc, v37, v38, vcc
	v_cmp_lt_i32_e64 s[50:51], 15, v31
	s_and_saveexec_b64 s[52:53], s[50:51]
	s_cbranch_execz .LBB4_1207
; %bb.1206:                             ;   in Loop: Header=BB4_1203 Depth=2
	global_load_dwordx4 v[10:13], v[36:37], off glc slc
	v_add_co_u32_e32 v36, vcc, 0x400, v36
	v_addc_co_u32_e32 v37, vcc, 0, v37, vcc
.LBB4_1207:                             ;   in Loop: Header=BB4_1203 Depth=2
	s_or_b64 exec, exec, s[52:53]
	s_waitcnt vmcnt(0)
	global_store_dwordx4 v[34:35], v[14:17], off glc slc
	v_add_co_u32_e32 v34, vcc, 0x400, v34
	v_sub_u32_e32 v44, v44, v2
	v_addc_co_u32_e32 v35, vcc, 0, v35, vcc
	s_and_saveexec_b64 s[52:53], s[50:51]
	s_cbranch_execz .LBB4_1202
; %bb.1208:                             ;   in Loop: Header=BB4_1203 Depth=2
	v_add_co_u32_e32 v34, vcc, v34, v22
	v_addc_co_u32_e32 v35, vcc, v35, v3, vcc
	v_add_co_u32_e32 v36, vcc, v36, v22
	v_addc_co_u32_e32 v37, vcc, v37, v3, vcc
	v_sub_u32_e32 v31, v31, v21
	v_sub_u32_e32 v44, v44, v2
	s_branch .LBB4_1202
.LBB4_1209:                             ;   in Loop: Header=BB4_1115 Depth=1
	s_or_b64 exec, exec, s[46:47]
	s_and_b64 s[46:47], s[48:49], exec
.LBB4_1210:                             ;   in Loop: Header=BB4_1115 Depth=1
	s_or_b64 exec, exec, s[44:45]
	s_and_saveexec_b64 vcc, s[46:47]
	s_cbranch_execz .LBB4_1212
; %bb.1211:                             ;   in Loop: Header=BB4_1115 Depth=1
	global_store_dwordx4 v[34:35], v[10:13], off glc slc
.LBB4_1212:                             ;   in Loop: Header=BB4_1115 Depth=1
	s_or_b64 exec, exec, vcc
	v_and_b32_e32 v7, 14, v55
	v_cndmask_b32_e64 v31, v45, v7, s[20:21]
	v_cmp_ne_u32_e32 vcc, 0, v31
	s_mov_b64 s[44:45], s[40:41]
                                        ; implicit-def: $vgpr16
                                        ; implicit-def: $vgpr6
                                        ; implicit-def: $vgpr17
	s_and_saveexec_b64 s[46:47], vcc
	s_cbranch_execz .LBB4_1214
; %bb.1213:                             ;   in Loop: Header=BB4_1115 Depth=1
	v_sub_u32_e32 v6, v45, v7
	v_cndmask_b32_e64 v6, 0, v6, s[20:21]
	v_cmp_lt_i32_e32 vcc, 0, v44
	v_add3_u32 v16, v41, v54, v6
	v_cndmask_b32_e32 v6, 0, v2, vcc
	v_sub_u32_e32 v6, v6, v44
	v_lshl_add_u32 v6, v6, 6, v40
	v_ashrrev_i32_e32 v7, 31, v6
	v_lshrrev_b32_e32 v7, 26, v7
	v_add_u32_e32 v7, v6, v7
	v_and_b32_e32 v7, 0xffffffc0, v7
	v_sub_u32_e32 v17, v6, v7
	s_or_b64 s[44:45], s[40:41], exec
.LBB4_1214:                             ;   in Loop: Header=BB4_1115 Depth=1
	s_or_b64 exec, exec, s[46:47]
	s_andn2_b64 s[20:21], s[40:41], exec
	s_and_b64 vcc, s[44:45], exec
	s_or_b64 s[40:41], s[20:21], vcc
.LBB4_1215:                             ;   in Loop: Header=BB4_1115 Depth=1
	s_or_b64 exec, exec, s[42:43]
	s_and_saveexec_b64 s[20:21], s[40:41]
	s_cbranch_execz .LBB4_1237
.LBB4_1216:                             ;   in Loop: Header=BB4_1115 Depth=1
	v_ashrrev_i32_e32 v7, 31, v6
	v_lshrrev_b32_e32 v7, 26, v7
	v_add_u32_e32 v6, v6, v7
	v_ashrrev_i32_e32 v6, 6, v6
	v_lshlrev_b32_e32 v7, 9, v6
	v_lshlrev_b32_e32 v8, 1, v17
	v_add3_u32 v12, v16, v8, v7
	v_ashrrev_i32_e32 v7, 31, v31
	v_lshrrev_b32_e32 v7, 23, v7
	v_add_u32_e32 v7, v31, v7
	v_ashrrev_i32_e32 v34, 9, v7
	v_ashrrev_i32_e32 v13, 31, v12
	s_waitcnt lgkmcnt(0)
	v_add_co_u32_e32 v10, vcc, v32, v12
	v_sub_u32_e32 v14, v34, v6
	v_addc_co_u32_e32 v11, vcc, v33, v13, vcc
	v_cmp_lt_i32_e32 vcc, 0, v14
	s_mov_b64 s[42:43], 0
                                        ; implicit-def: $vgpr35
                                        ; implicit-def: $vgpr36
                                        ; implicit-def: $vgpr37
                                        ; implicit-def: $vgpr54
	s_and_saveexec_b64 s[40:41], vcc
	s_cbranch_execz .LBB4_1224
; %bb.1217:                             ;   in Loop: Header=BB4_1115 Depth=1
	s_trap 2
	ds_read_b64 v[6:7], v0
	s_mov_b64 s[46:47], 0
                                        ; implicit-def: $sgpr44_sgpr45
                                        ; implicit-def: $vgpr35
                                        ; implicit-def: $vgpr36
                                        ; implicit-def: $vgpr37
                                        ; implicit-def: $vgpr54
	s_waitcnt lgkmcnt(0)
	v_add_co_u32_e32 v12, vcc, v6, v12
	v_addc_co_u32_e32 v13, vcc, v7, v13, vcc
	s_branch .LBB4_1219
.LBB4_1218:                             ;   in Loop: Header=BB4_1219 Depth=2
	s_or_b64 exec, exec, s[48:49]
	s_waitcnt vmcnt(0) lgkmcnt(0)
	flat_store_short v[10:11], v6 glc slc
	flat_store_short v[10:11], v7 offset:128 glc slc
	flat_store_short v[10:11], v8 offset:256 glc slc
	;; [unrolled: 1-line block ×3, first 2 shown]
	v_add_co_u32_e32 v6, vcc, v10, v14
	v_addc_co_u32_e32 v7, vcc, v11, v15, vcc
	v_add_co_u32_e32 v10, vcc, 0x200, v6
	v_addc_co_u32_e32 v11, vcc, 0, v7, vcc
	;; [unrolled: 2-line block ×3, first 2 shown]
	v_sub_u32_e32 v14, v55, v40
	v_cmp_gt_i32_e32 vcc, 1, v14
	s_or_b64 s[42:43], vcc, s[42:43]
	s_andn2_b64 vcc, s[44:45], exec
	s_and_b64 s[44:45], s[46:47], exec
	s_or_b64 s[44:45], vcc, s[44:45]
	s_andn2_b64 exec, exec, s[42:43]
	s_cbranch_execz .LBB4_1223
.LBB4_1219:                             ;   Parent Loop BB4_1115 Depth=1
                                        ; =>  This Inner Loop Header: Depth=2
	flat_load_ushort v6, v[12:13] glc slc
	flat_load_ushort v7, v[12:13] offset:128 glc slc
	flat_load_ushort v8, v[12:13] offset:256 glc slc
	;; [unrolled: 1-line block ×3, first 2 shown]
	s_and_saveexec_b64 s[48:49], s[46:47]
	s_cbranch_execz .LBB4_1221
; %bb.1220:                             ;   in Loop: Header=BB4_1219 Depth=2
	flat_store_short v[10:11], v35 glc slc
	flat_store_short v[10:11], v36 offset:128 glc slc
	flat_store_short v[10:11], v37 offset:256 glc slc
	;; [unrolled: 1-line block ×3, first 2 shown]
	v_add_co_u32_e32 v10, vcc, v10, v39
	v_addc_co_u32_e32 v11, vcc, v11, v48, vcc
.LBB4_1221:                             ;   in Loop: Header=BB4_1219 Depth=2
	s_or_b64 exec, exec, s[48:49]
	v_add_co_u32_e32 v12, vcc, v12, v39
	v_sub_u32_e32 v55, v14, v2
	v_addc_co_u32_e32 v13, vcc, v13, v48, vcc
	v_cmp_lt_i32_e64 s[46:47], 0, v55
	v_mov_b32_e32 v40, 0
	v_pk_mov_b32 v[14:15], 0, 0
	s_and_saveexec_b64 s[48:49], s[46:47]
	s_cbranch_execz .LBB4_1218
; %bb.1222:                             ;   in Loop: Header=BB4_1219 Depth=2
	flat_load_ushort v35, v[12:13] glc slc
	flat_load_ushort v36, v[12:13] offset:128 glc slc
	flat_load_ushort v37, v[12:13] offset:256 glc slc
	;; [unrolled: 1-line block ×3, first 2 shown]
	v_add_co_u32_e32 v12, vcc, 0x200, v12
	v_addc_co_u32_e32 v13, vcc, 0, v13, vcc
	v_mov_b32_e32 v40, v2
	v_pk_mov_b32 v[14:15], v[24:25], v[24:25] op_sel:[0,1]
	s_branch .LBB4_1218
.LBB4_1223:                             ;   in Loop: Header=BB4_1115 Depth=1
	s_or_b64 exec, exec, s[42:43]
	s_and_b64 s[42:43], s[44:45], exec
.LBB4_1224:                             ;   in Loop: Header=BB4_1115 Depth=1
	s_or_b64 exec, exec, s[40:41]
	s_and_saveexec_b64 vcc, s[42:43]
	s_cbranch_execz .LBB4_1226
; %bb.1225:                             ;   in Loop: Header=BB4_1115 Depth=1
	flat_store_short v[10:11], v35 glc slc
	flat_store_short v[10:11], v36 offset:128 glc slc
	flat_store_short v[10:11], v37 offset:256 glc slc
	;; [unrolled: 1-line block ×3, first 2 shown]
.LBB4_1226:                             ;   in Loop: Header=BB4_1115 Depth=1
	s_or_b64 exec, exec, vcc
	v_lshlrev_b32_e32 v6, 9, v34
	v_cmp_ne_u32_e32 vcc, v31, v6
	s_and_b64 exec, exec, vcc
	s_cbranch_execz .LBB4_1237
; %bb.1227:                             ;   in Loop: Header=BB4_1115 Depth=1
	v_lshlrev_b32_e32 v7, 6, v14
	v_sub_u32_e32 v7, v17, v7
	v_ashrrev_i32_e32 v8, 31, v7
	v_lshrrev_b32_e32 v8, 26, v8
	v_add_u32_e32 v8, v7, v8
	v_and_b32_e32 v9, 0x7fffffc0, v8
	v_sub_u32_e32 v7, v7, v9
	v_lshlrev_b32_e32 v8, 1, v8
	v_and_b32_e32 v8, 0xffffff80, v8
	v_lshlrev_b32_e32 v7, 1, v7
	v_add3_u32 v6, v8, v7, v6
	v_add_u32_e32 v12, v6, v16
	v_ashrrev_i32_e32 v13, 31, v12
	v_add_co_u32_e32 v10, vcc, v32, v12
	v_sub_u32_e32 v6, v31, v6
	v_addc_co_u32_e32 v11, vcc, v33, v13, vcc
	v_cmp_lt_i32_e32 vcc, 1, v6
	s_mov_b64 s[42:43], 0
                                        ; implicit-def: $vgpr16
	s_and_saveexec_b64 s[40:41], vcc
	s_cbranch_execz .LBB4_1235
; %bb.1228:                             ;   in Loop: Header=BB4_1115 Depth=1
	s_trap 2
	ds_read_b64 v[8:9], v0
	s_mov_b64 s[46:47], 0
                                        ; implicit-def: $sgpr44_sgpr45
                                        ; implicit-def: $vgpr16
	s_waitcnt lgkmcnt(0)
	v_add_co_u32_e32 v12, vcc, v8, v12
	v_addc_co_u32_e32 v13, vcc, v9, v13, vcc
	s_branch .LBB4_1230
.LBB4_1229:                             ;   in Loop: Header=BB4_1230 Depth=2
	s_or_b64 exec, exec, s[48:49]
	s_waitcnt vmcnt(0) lgkmcnt(0)
	flat_store_short v[10:11], v7 glc slc
	v_add_co_u32_e32 v7, vcc, v10, v14
	v_addc_co_u32_e32 v9, vcc, v11, v15, vcc
	v_add_co_u32_e32 v12, vcc, v12, v14
	v_addc_co_u32_e32 v13, vcc, v13, v15, vcc
	;; [unrolled: 2-line block ×3, first 2 shown]
	v_sub_u32_e32 v6, v6, v8
	v_cmp_gt_i32_e32 vcc, 2, v6
	s_or_b64 s[42:43], vcc, s[42:43]
	s_andn2_b64 vcc, s[44:45], exec
	s_and_b64 s[44:45], s[46:47], exec
	s_or_b64 s[44:45], vcc, s[44:45]
	s_andn2_b64 exec, exec, s[42:43]
	s_cbranch_execz .LBB4_1234
.LBB4_1230:                             ;   Parent Loop BB4_1115 Depth=1
                                        ; =>  This Inner Loop Header: Depth=2
	flat_load_ushort v7, v[12:13] glc slc
	s_and_saveexec_b64 s[48:49], s[46:47]
	s_cbranch_execz .LBB4_1232
; %bb.1231:                             ;   in Loop: Header=BB4_1230 Depth=2
	v_add_co_u32_e32 v8, vcc, v10, v50
	v_addc_co_u32_e32 v9, vcc, v11, v51, vcc
	flat_store_short v[10:11], v16 glc slc
	v_pk_mov_b32 v[10:11], v[8:9], v[8:9] op_sel:[0,1]
.LBB4_1232:                             ;   in Loop: Header=BB4_1230 Depth=2
	s_or_b64 exec, exec, s[48:49]
	v_add_co_u32_e32 v12, vcc, v12, v50
	v_sub_u32_e32 v6, v6, v49
	v_addc_co_u32_e32 v13, vcc, v13, v51, vcc
	v_cmp_lt_i32_e64 s[46:47], 1, v6
	v_mov_b32_e32 v8, 0
	v_pk_mov_b32 v[14:15], 0, 0
	s_and_saveexec_b64 s[48:49], s[46:47]
	s_cbranch_execz .LBB4_1229
; %bb.1233:                             ;   in Loop: Header=BB4_1230 Depth=2
	flat_load_ushort v16, v[12:13] glc slc
	v_add_co_u32_e32 v12, vcc, 0x80, v12
	v_addc_co_u32_e32 v13, vcc, 0, v13, vcc
	v_mov_b32_e32 v8, v49
	v_pk_mov_b32 v[14:15], v[26:27], v[26:27] op_sel:[0,1]
	s_branch .LBB4_1229
.LBB4_1234:                             ;   in Loop: Header=BB4_1115 Depth=1
	s_or_b64 exec, exec, s[42:43]
	s_and_b64 s[42:43], s[44:45], exec
.LBB4_1235:                             ;   in Loop: Header=BB4_1115 Depth=1
	s_or_b64 exec, exec, s[40:41]
	s_and_b64 exec, exec, s[42:43]
	s_cbranch_execz .LBB4_1237
; %bb.1236:                             ;   in Loop: Header=BB4_1115 Depth=1
	flat_store_short v[10:11], v16 glc slc
.LBB4_1237:                             ;   in Loop: Header=BB4_1115 Depth=1
	s_or_b64 exec, exec, s[20:21]
	v_cmp_ne_u32_e64 s[20:21], 0, v18
.LBB4_1238:                             ;   in Loop: Header=BB4_1115 Depth=1
	s_and_saveexec_b64 s[40:41], s[10:11]
	s_cbranch_execz .LBB4_1257
; %bb.1239:                             ;   in Loop: Header=BB4_1115 Depth=1
	s_and_saveexec_b64 vcc, s[30:31]
	s_xor_b64 s[42:43], exec, vcc
	s_cbranch_execz .LBB4_1254
; %bb.1240:                             ;   in Loop: Header=BB4_1115 Depth=1
	s_and_saveexec_b64 s[44:45], s[12:13]
	s_cbranch_execz .LBB4_1253
; %bb.1241:                             ;   in Loop: Header=BB4_1115 Depth=1
	s_mov_b64 s[48:49], exec
	v_mbcnt_lo_u32_b32 v6, s48, 0
	v_mbcnt_hi_u32_b32 v6, s49, v6
	v_cmp_eq_u32_e32 vcc, 0, v6
	s_waitcnt vmcnt(0) lgkmcnt(0)
	buffer_wbinvl1_vol
	s_and_saveexec_b64 s[46:47], vcc
	s_cbranch_execz .LBB4_1243
; %bb.1242:                             ;   in Loop: Header=BB4_1115 Depth=1
	s_bcnt1_i32_b64 vcc_lo, s[48:49]
	v_mov_b32_e32 v18, vcc_lo
	ds_add_u64 v0, v[18:19]
	s_trap 2
.LBB4_1243:                             ;   in Loop: Header=BB4_1115 Depth=1
	s_or_b64 exec, exec, s[46:47]
	s_trap 2
	ds_read_b64 v[6:7], v0
	v_accvgpr_read_b32 v8, a18
	v_accvgpr_read_b32 v9, a19
	v_add_co_u32_e32 v8, vcc, v8, v2
	v_addc_co_u32_e32 v9, vcc, 0, v9, vcc
	v_accvgpr_write_b32 a19, v9
	v_accvgpr_write_b32 a18, v8
	s_waitcnt lgkmcnt(0)
	v_cmp_lt_u64_e32 vcc, v[6:7], v[8:9]
	s_and_saveexec_b64 s[46:47], vcc
	s_cbranch_execz .LBB4_1252
; %bb.1244:                             ;   in Loop: Header=BB4_1115 Depth=1
	s_mov_b32 s60, 0
	s_mov_b64 s[48:49], 0
                                        ; implicit-def: $sgpr50_sgpr51
                                        ; implicit-def: $sgpr52_sgpr53
	s_branch .LBB4_1246
.LBB4_1245:                             ;   in Loop: Header=BB4_1246 Depth=2
	s_or_b64 exec, exec, s[56:57]
	s_and_b64 vcc, exec, vcc
	s_or_b64 s[48:49], vcc, s[48:49]
	s_andn2_b64 vcc, s[50:51], exec
	s_and_b64 s[50:51], s[52:53], exec
	s_or_b64 s[50:51], vcc, s[50:51]
	s_andn2_b64 exec, exec, s[48:49]
	s_cbranch_execz .LBB4_1250
.LBB4_1246:                             ;   Parent Loop BB4_1115 Depth=1
                                        ; =>  This Inner Loop Header: Depth=2
	s_add_i32 s60, s60, 1
	s_cmpk_lg_i32 s60, 0x2710
	s_cselect_b64 s[54:55], -1, 0
	s_and_b64 vcc, exec, s[54:55]
                                        ; implicit-def: $sgpr56_sgpr57
	s_cbranch_vccnz .LBB4_1248
; %bb.1247:                             ;   in Loop: Header=BB4_1246 Depth=2
	s_trap 2
	ds_read_b64 v[6:7], v0
	s_andn2_b64 s[54:55], s[54:55], exec
	s_mov_b32 s60, 0
	s_mov_b64 s[56:57], -1
	s_waitcnt lgkmcnt(0)
	flat_load_dword v6, v[6:7] glc
	s_waitcnt vmcnt(0) lgkmcnt(0)
	buffer_invl2
	buffer_wbinvl1_vol
	v_cmp_eq_u32_e32 vcc, 0, v6
	s_and_b64 vcc, vcc, exec
	s_or_b64 s[54:55], s[54:55], vcc
.LBB4_1248:                             ;   in Loop: Header=BB4_1246 Depth=2
	s_andn2_b64 s[52:53], s[52:53], exec
	s_and_b64 s[56:57], s[56:57], exec
	s_mov_b64 vcc, -1
	s_or_b64 s[52:53], s[52:53], s[56:57]
	s_and_saveexec_b64 s[56:57], s[54:55]
	s_cbranch_execz .LBB4_1245
; %bb.1249:                             ;   in Loop: Header=BB4_1246 Depth=2
	s_sleep 1
	s_trap 2
	ds_read_b64 v[6:7], v0
	v_accvgpr_read_b32 v8, a18
	v_accvgpr_read_b32 v9, a19
	s_andn2_b64 s[52:53], s[52:53], exec
	s_waitcnt lgkmcnt(0)
	v_cmp_ge_u64_e32 vcc, v[6:7], v[8:9]
	s_orn2_b64 vcc, vcc, exec
	s_branch .LBB4_1245
.LBB4_1250:                             ;   in Loop: Header=BB4_1115 Depth=1
	s_or_b64 exec, exec, s[48:49]
	s_and_saveexec_b64 vcc, s[50:51]
	s_xor_b64 vcc, exec, vcc
	s_cbranch_execz .LBB4_1252
; %bb.1251:                             ;   in Loop: Header=BB4_1115 Depth=1
	ds_write_b32 v0, v52
	s_trap 2
.LBB4_1252:                             ;   in Loop: Header=BB4_1115 Depth=1
	s_or_b64 exec, exec, s[46:47]
	;;#ASMSTART
	s_wakeup
	;;#ASMEND
.LBB4_1253:                             ;   in Loop: Header=BB4_1115 Depth=1
	s_or_b64 exec, exec, s[44:45]
.LBB4_1254:                             ;   in Loop: Header=BB4_1115 Depth=1
	s_andn2_saveexec_b64 vcc, s[42:43]
	s_cbranch_execz .LBB4_1256
; %bb.1255:                             ;   in Loop: Header=BB4_1115 Depth=1
	s_waitcnt vmcnt(0) lgkmcnt(0)
	buffer_wbinvl1_vol
	s_barrier
.LBB4_1256:                             ;   in Loop: Header=BB4_1115 Depth=1
	s_or_b64 exec, exec, vcc
.LBB4_1257:                             ;   in Loop: Header=BB4_1115 Depth=1
	s_or_b64 exec, exec, s[40:41]
	v_and_b32_e32 v6, 16, v62
	v_cmp_ne_u32_e32 vcc, 0, v6
	s_and_b64 vcc, vcc, s[20:21]
	s_and_saveexec_b64 s[20:21], vcc
	s_cbranch_execz .LBB4_1259
; %bb.1258:                             ;   in Loop: Header=BB4_1115 Depth=1
	s_waitcnt vmcnt(0) lgkmcnt(0)
	buffer_wbinvl1_vol
.LBB4_1259:                             ;   in Loop: Header=BB4_1115 Depth=1
	s_or_b64 exec, exec, s[20:21]
	v_cmp_ne_u32_e32 vcc, 0, v6
	s_and_saveexec_b64 s[20:21], vcc
	s_cbranch_execz .LBB4_1263
; %bb.1260:                             ;   in Loop: Header=BB4_1115 Depth=1
	s_and_saveexec_b64 vcc, s[18:19]
	s_cbranch_execz .LBB4_1262
; %bb.1261:                             ;   in Loop: Header=BB4_1115 Depth=1
	flat_store_dword v[58:59], v52
.LBB4_1262:                             ;   in Loop: Header=BB4_1115 Depth=1
	s_or_b64 exec, exec, vcc
	v_accvgpr_read_b32 v6, a10
	v_accvgpr_read_b32 v8, a12
	;; [unrolled: 1-line block ×3, first 2 shown]
	v_add_co_u32_e32 v8, vcc, 1, v8
	v_addc_co_u32_e32 v9, vcc, 0, v9, vcc
	v_accvgpr_read_b32 v7, a11
	v_accvgpr_write_b32 a13, v9
	v_accvgpr_write_b32 a12, v8
	;; [unrolled: 1-line block ×4, first 2 shown]
	flat_store_dwordx2 v[42:43], v[8:9]
.LBB4_1263:                             ;   in Loop: Header=BB4_1115 Depth=1
	s_or_b64 exec, exec, s[20:21]
	v_mov_b32_e32 v12, v53
.LBB4_1264:                             ;   in Loop: Header=BB4_1115 Depth=1
	s_or_b64 exec, exec, s[38:39]
	s_and_saveexec_b64 s[38:39], s[36:37]
	s_cbranch_execz .LBB4_1114
; %bb.1265:                             ;   in Loop: Header=BB4_1115 Depth=1
	v_and_b32_e32 v6, 8, v62
	v_cmp_ne_u32_e32 vcc, 0, v6
	s_mov_b64 s[36:37], -1
	s_and_saveexec_b64 s[20:21], vcc
	s_cbranch_execz .LBB4_1277
; %bb.1266:                             ;   in Loop: Header=BB4_1115 Depth=1
	v_add_co_u32_e32 v6, vcc, 8, v46
	v_accvgpr_read_b32 v8, a10
	v_addc_co_u32_e32 v7, vcc, 0, v47, vcc
	v_accvgpr_read_b32 v10, a12
	v_accvgpr_read_b32 v11, a13
	v_add_co_u32_e32 v10, vcc, 1, v10
	v_addc_co_u32_e32 v11, vcc, 0, v11, vcc
	v_cmp_lt_u64_e32 vcc, v[6:7], v[10:11]
	v_mov_b32_e32 v6, 1
	v_accvgpr_read_b32 v9, a11
	s_and_saveexec_b64 s[36:37], vcc
	s_cbranch_execz .LBB4_1276
; %bb.1267:                             ;   in Loop: Header=BB4_1115 Depth=1
	s_mov_b64 s[40:41], 0
	v_mov_b32_e32 v6, 0
                                        ; implicit-def: $sgpr42_sgpr43
	s_branch .LBB4_1271
.LBB4_1268:                             ;   in Loop: Header=BB4_1271 Depth=2
	s_or_b64 exec, exec, s[50:51]
	v_mov_b32_e32 v7, 0
	s_orn2_b64 s[48:49], s[48:49], exec
.LBB4_1269:                             ;   in Loop: Header=BB4_1271 Depth=2
	s_or_b64 exec, exec, s[46:47]
	s_andn2_b64 vcc, s[42:43], exec
	s_and_b64 s[42:43], s[48:49], exec
	s_or_b64 s[42:43], vcc, s[42:43]
	v_mov_b32_e32 v6, v7
.LBB4_1270:                             ;   in Loop: Header=BB4_1271 Depth=2
	s_or_b64 exec, exec, s[44:45]
	s_waitcnt vmcnt(0) lgkmcnt(0)
	v_add_co_u32_e32 v8, vcc, 8, v46
	v_addc_co_u32_e32 v9, vcc, 0, v47, vcc
	v_cmp_ge_u64_e32 vcc, v[8:9], v[10:11]
	s_xor_b64 s[44:45], s[42:43], -1
	s_or_b64 vcc, s[44:45], vcc
	s_and_b64 vcc, exec, vcc
	s_or_b64 s[40:41], vcc, s[40:41]
	s_andn2_b64 exec, exec, s[40:41]
	s_cbranch_execz .LBB4_1275
.LBB4_1271:                             ;   Parent Loop BB4_1115 Depth=1
                                        ; =>  This Inner Loop Header: Depth=2
	s_sleep 1
	flat_load_dwordx2 v[46:47], v[42:43] glc
	v_and_b32_e32 v7, 64, v62
	v_cmp_eq_u32_e32 vcc, 0, v7
	s_andn2_b64 s[42:43], s[42:43], exec
	s_and_saveexec_b64 s[44:45], vcc
	s_cbranch_execz .LBB4_1270
; %bb.1272:                             ;   in Loop: Header=BB4_1271 Depth=2
	v_add_u32_e32 v7, 1, v6
	v_cmp_lt_i32_e32 vcc, s59, v6
	s_mov_b64 s[48:49], -1
	s_and_saveexec_b64 s[46:47], vcc
	s_cbranch_execz .LBB4_1269
; %bb.1273:                             ;   in Loop: Header=BB4_1271 Depth=2
	s_trap 2
	ds_read_b64 v[6:7], v0
	s_waitcnt vmcnt(0) lgkmcnt(0)
	flat_load_dword v6, v[6:7] glc
	s_waitcnt vmcnt(0) lgkmcnt(0)
	buffer_invl2
	buffer_wbinvl1_vol
	v_cmp_ne_u32_e32 vcc, 0, v6
	s_and_saveexec_b64 s[50:51], vcc
	s_cbranch_execz .LBB4_1268
; %bb.1274:                             ;   in Loop: Header=BB4_1271 Depth=2
	v_or_b32_e32 v62, 64, v62
	s_xor_b64 s[48:49], exec, -1
	ds_write_b32 v0, v6
	s_trap 2
	s_branch .LBB4_1268
.LBB4_1275:                             ;   in Loop: Header=BB4_1115 Depth=1
	s_or_b64 exec, exec, s[40:41]
	v_and_b32_e32 v6, 8, v62
.LBB4_1276:                             ;   in Loop: Header=BB4_1115 Depth=1
	s_or_b64 exec, exec, s[36:37]
	v_cmp_eq_u32_e32 vcc, 0, v6
	s_orn2_b64 s[36:37], vcc, exec
	;;#ASMSTART
	s_wakeup
	;;#ASMEND
.LBB4_1277:                             ;   in Loop: Header=BB4_1115 Depth=1
	s_or_b64 exec, exec, s[20:21]
	v_sub_u32_e32 v6, v30, v12
	s_xor_b64 s[20:21], s[36:37], -1
	v_min_i32_e32 v10, v53, v6
	s_and_saveexec_b64 s[36:37], s[20:21]
	s_cbranch_execz .LBB4_1287
; %bb.1278:                             ;   in Loop: Header=BB4_1115 Depth=1
	v_and_b32_e32 v6, 0x100, v62
	v_cmp_ne_u32_e32 vcc, 0, v6
	v_accvgpr_read_b32 v6, a10
	v_accvgpr_read_b32 v8, a12
	v_and_b32_e32 v6, 7, v8
	s_mov_b64 s[20:21], -1
	v_accvgpr_read_b32 v7, a11
	v_accvgpr_read_b32 v9, a13
                                        ; implicit-def: $vgpr12_vgpr13
	s_and_saveexec_b64 s[40:41], vcc
	s_cbranch_execz .LBB4_1282
; %bb.1279:                             ;   in Loop: Header=BB4_1115 Depth=1
	v_accvgpr_read_b32 v15, a13
	v_accvgpr_read_b32 v14, a12
	v_accvgpr_read_b32 v13, a11
	v_accvgpr_read_b32 v12, a10
	v_mad_u64_u32 v[14:15], s[20:21], v6, 24, v[12:13]
	flat_load_dword v7, v[14:15]
	v_ashrrev_i32_e32 v11, 31, v10
	v_lshlrev_b64 v[8:9], 1, v[10:11]
	flat_store_dwordx2 v[14:15], v[8:9] offset:8
                                        ; implicit-def: $vgpr12_vgpr13
	s_waitcnt vmcnt(0) lgkmcnt(0)
	v_cmp_ne_u32_e32 vcc, 1, v7
	v_cmp_eq_u32_e64 s[20:21], 1, v7
	s_and_saveexec_b64 s[42:43], s[20:21]
	s_cbranch_execz .LBB4_1281
; %bb.1280:                             ;   in Loop: Header=BB4_1115 Depth=1
	flat_load_dword v8, v[14:15] offset:4 glc
	s_waitcnt vmcnt(0) lgkmcnt(0)
	v_ashrrev_i32_e32 v9, 31, v8
	v_lshrrev_b64 v[12:13], 1, v[8:9]
.LBB4_1281:                             ;   in Loop: Header=BB4_1115 Depth=1
	s_or_b64 exec, exec, s[42:43]
	s_orn2_b64 s[20:21], vcc, exec
.LBB4_1282:                             ;   in Loop: Header=BB4_1115 Depth=1
	s_or_b64 exec, exec, s[40:41]
	s_and_saveexec_b64 vcc, s[20:21]
; %bb.1283:                             ;   in Loop: Header=BB4_1115 Depth=1
	v_accvgpr_read_b32 v8, a14
	v_mad_i64_i32 v[12:13], s[20:21], v6, v8, 0
; %bb.1284:                             ;   in Loop: Header=BB4_1115 Depth=1
	s_or_b64 exec, exec, vcc
	v_lshlrev_b64 v[6:7], 1, v[12:13]
	v_accvgpr_read_b32 v8, a16
	v_accvgpr_read_b32 v9, a17
	v_add_co_u32_e32 v6, vcc, v8, v6
	v_addc_co_u32_e32 v7, vcc, v9, v7, vcc
	ds_write_b64 v0, v[6:7] offset:784
	v_and_b32_e32 v6, 0x2000, v62
	v_cmp_ne_u32_e32 vcc, 0, v6
	s_and_saveexec_b64 s[20:21], vcc
	s_cbranch_execz .LBB4_1286
; %bb.1285:                             ;   in Loop: Header=BB4_1115 Depth=1
	ds_read_b64 v[6:7], v0 offset:584
	s_waitcnt lgkmcnt(0)
	v_add_co_u32_e32 v6, vcc, 1, v6
	v_addc_co_u32_e32 v7, vcc, 0, v7, vcc
	ds_write_b64 v0, v[6:7] offset:584
.LBB4_1286:                             ;   in Loop: Header=BB4_1115 Depth=1
	s_or_b64 exec, exec, s[20:21]
	v_accvgpr_read_b32 v6, a10
	v_accvgpr_read_b32 v8, a12
	;; [unrolled: 1-line block ×3, first 2 shown]
	v_add_co_u32_e32 v8, vcc, 1, v8
	v_addc_co_u32_e32 v9, vcc, 0, v9, vcc
	v_accvgpr_read_b32 v7, a11
	v_accvgpr_write_b32 a13, v9
	v_accvgpr_write_b32 a12, v8
	v_accvgpr_write_b32 a11, v7
	v_accvgpr_write_b32 a10, v6
.LBB4_1287:                             ;   in Loop: Header=BB4_1115 Depth=1
	s_or_b64 exec, exec, s[36:37]
	s_and_saveexec_b64 s[20:21], s[10:11]
	s_cbranch_execz .LBB4_1306
; %bb.1288:                             ;   in Loop: Header=BB4_1115 Depth=1
	s_and_saveexec_b64 vcc, s[30:31]
	s_xor_b64 s[36:37], exec, vcc
	s_cbranch_execz .LBB4_1303
; %bb.1289:                             ;   in Loop: Header=BB4_1115 Depth=1
	s_and_saveexec_b64 s[40:41], s[12:13]
	s_cbranch_execz .LBB4_1302
; %bb.1290:                             ;   in Loop: Header=BB4_1115 Depth=1
	s_mov_b64 s[44:45], exec
	v_mbcnt_lo_u32_b32 v6, s44, 0
	v_mbcnt_hi_u32_b32 v6, s45, v6
	v_cmp_eq_u32_e32 vcc, 0, v6
	s_waitcnt vmcnt(0) lgkmcnt(0)
	buffer_wbinvl1_vol
	s_and_saveexec_b64 s[42:43], vcc
	s_cbranch_execz .LBB4_1292
; %bb.1291:                             ;   in Loop: Header=BB4_1115 Depth=1
	s_bcnt1_i32_b64 vcc_lo, s[44:45]
	v_mov_b32_e32 v18, vcc_lo
	ds_add_u64 v0, v[18:19]
	s_trap 2
.LBB4_1292:                             ;   in Loop: Header=BB4_1115 Depth=1
	s_or_b64 exec, exec, s[42:43]
	s_trap 2
	ds_read_b64 v[6:7], v0
	v_accvgpr_read_b32 v8, a18
	v_accvgpr_read_b32 v9, a19
	v_add_co_u32_e32 v8, vcc, v8, v2
	v_addc_co_u32_e32 v9, vcc, 0, v9, vcc
	v_accvgpr_write_b32 a19, v9
	v_accvgpr_write_b32 a18, v8
	s_waitcnt lgkmcnt(0)
	v_cmp_lt_u64_e32 vcc, v[6:7], v[8:9]
	s_and_saveexec_b64 s[42:43], vcc
	s_cbranch_execz .LBB4_1301
; %bb.1293:                             ;   in Loop: Header=BB4_1115 Depth=1
	s_mov_b32 s54, 0
	s_mov_b64 s[44:45], 0
                                        ; implicit-def: $sgpr46_sgpr47
                                        ; implicit-def: $sgpr48_sgpr49
	s_branch .LBB4_1295
.LBB4_1294:                             ;   in Loop: Header=BB4_1295 Depth=2
	s_or_b64 exec, exec, s[52:53]
	s_and_b64 vcc, exec, vcc
	s_or_b64 s[44:45], vcc, s[44:45]
	s_andn2_b64 vcc, s[46:47], exec
	s_and_b64 s[46:47], s[48:49], exec
	s_or_b64 s[46:47], vcc, s[46:47]
	s_andn2_b64 exec, exec, s[44:45]
	s_cbranch_execz .LBB4_1299
.LBB4_1295:                             ;   Parent Loop BB4_1115 Depth=1
                                        ; =>  This Inner Loop Header: Depth=2
	s_add_i32 s54, s54, 1
	s_cmpk_lg_i32 s54, 0x2710
	s_cselect_b64 s[50:51], -1, 0
	s_and_b64 vcc, exec, s[50:51]
                                        ; implicit-def: $sgpr52_sgpr53
	s_cbranch_vccnz .LBB4_1297
; %bb.1296:                             ;   in Loop: Header=BB4_1295 Depth=2
	s_trap 2
	ds_read_b64 v[6:7], v0
	s_andn2_b64 s[50:51], s[50:51], exec
	s_mov_b32 s54, 0
	s_mov_b64 s[52:53], -1
	s_waitcnt lgkmcnt(0)
	flat_load_dword v6, v[6:7] glc
	s_waitcnt vmcnt(0) lgkmcnt(0)
	buffer_invl2
	buffer_wbinvl1_vol
	v_cmp_eq_u32_e32 vcc, 0, v6
	s_and_b64 vcc, vcc, exec
	s_or_b64 s[50:51], s[50:51], vcc
.LBB4_1297:                             ;   in Loop: Header=BB4_1295 Depth=2
	s_andn2_b64 s[48:49], s[48:49], exec
	s_and_b64 s[52:53], s[52:53], exec
	s_mov_b64 vcc, -1
	s_or_b64 s[48:49], s[48:49], s[52:53]
	s_and_saveexec_b64 s[52:53], s[50:51]
	s_cbranch_execz .LBB4_1294
; %bb.1298:                             ;   in Loop: Header=BB4_1295 Depth=2
	s_sleep 1
	s_trap 2
	ds_read_b64 v[6:7], v0
	v_accvgpr_read_b32 v8, a18
	v_accvgpr_read_b32 v9, a19
	s_andn2_b64 s[48:49], s[48:49], exec
	s_waitcnt lgkmcnt(0)
	v_cmp_ge_u64_e32 vcc, v[6:7], v[8:9]
	s_orn2_b64 vcc, vcc, exec
	s_branch .LBB4_1294
.LBB4_1299:                             ;   in Loop: Header=BB4_1115 Depth=1
	s_or_b64 exec, exec, s[44:45]
	s_and_saveexec_b64 vcc, s[46:47]
	s_xor_b64 vcc, exec, vcc
	s_cbranch_execz .LBB4_1301
; %bb.1300:                             ;   in Loop: Header=BB4_1115 Depth=1
	ds_write_b32 v0, v52
	s_trap 2
.LBB4_1301:                             ;   in Loop: Header=BB4_1115 Depth=1
	s_or_b64 exec, exec, s[42:43]
	;;#ASMSTART
	s_wakeup
	;;#ASMEND
.LBB4_1302:                             ;   in Loop: Header=BB4_1115 Depth=1
	s_or_b64 exec, exec, s[40:41]
.LBB4_1303:                             ;   in Loop: Header=BB4_1115 Depth=1
	s_andn2_saveexec_b64 vcc, s[36:37]
	s_cbranch_execz .LBB4_1305
; %bb.1304:                             ;   in Loop: Header=BB4_1115 Depth=1
	s_waitcnt vmcnt(0) lgkmcnt(0)
	buffer_wbinvl1_vol
	s_barrier
.LBB4_1305:                             ;   in Loop: Header=BB4_1115 Depth=1
	s_or_b64 exec, exec, vcc
.LBB4_1306:                             ;   in Loop: Header=BB4_1115 Depth=1
	s_or_b64 exec, exec, s[20:21]
	s_trap 2
	ds_read_b32 v7, v0
	v_cmp_lt_i32_e32 vcc, 0, v10
	v_and_b32_e32 v6, 16, v62
	s_waitcnt lgkmcnt(0)
	v_readfirstlane_b32 s20, v7
	s_cmp_eq_u32 s20, 0
	s_cselect_b64 s[20:21], -1, 0
	s_and_b64 s[20:21], vcc, s[20:21]
	v_cmp_ne_u32_e32 vcc, 0, v6
	s_and_b64 vcc, vcc, s[20:21]
	s_and_saveexec_b64 s[20:21], vcc
	s_cbranch_execz .LBB4_1308
; %bb.1307:                             ;   in Loop: Header=BB4_1115 Depth=1
	s_waitcnt vmcnt(0)
	buffer_wbinvl1_vol
.LBB4_1308:                             ;   in Loop: Header=BB4_1115 Depth=1
	s_or_b64 exec, exec, s[20:21]
	v_cmp_ne_u32_e32 vcc, 0, v6
	s_and_saveexec_b64 s[20:21], vcc
	s_cbranch_execz .LBB4_1113
; %bb.1309:                             ;   in Loop: Header=BB4_1115 Depth=1
	s_and_saveexec_b64 vcc, s[18:19]
	s_cbranch_execz .LBB4_1112
; %bb.1310:                             ;   in Loop: Header=BB4_1115 Depth=1
	flat_store_dword v[58:59], v52
	s_branch .LBB4_1112
.LBB4_1311:
	s_or_b64 exec, exec, s[26:27]
	v_accvgpr_read_b32 v19, a13
	v_accvgpr_read_b32 v31, a0
	;; [unrolled: 1-line block ×6, first 2 shown]
.LBB4_1312:
	s_or_b64 exec, exec, s[24:25]
.LBB4_1313:
	s_or_b64 exec, exec, s[22:23]
	v_and_b32_e32 v0, 0x800, v62
	v_cmp_eq_u32_e32 vcc, 0, v0
	s_and_saveexec_b64 s[4:5], vcc
	s_cbranch_execz .LBB4_1348
; %bb.1314:
	v_and_b32_e32 v0, 48, v62
	v_cmp_ne_u32_e32 vcc, 0, v0
	s_and_saveexec_b64 s[6:7], vcc
	s_cbranch_execz .LBB4_1316
; %bb.1315:
	v_accvgpr_read_b32 v0, a8
	v_accvgpr_read_b32 v1, a9
	flat_store_dwordx2 v[0:1], v[18:19] offset:104
.LBB4_1316:
	s_or_b64 exec, exec, s[6:7]
	s_movk_i32 s6, 0x88
	v_and_b32_e32 v0, 0x88, v62
	v_cmp_eq_u32_e32 vcc, s6, v0
	s_and_saveexec_b64 s[6:7], vcc
	s_cbranch_execz .LBB4_1328
; %bb.1317:
	v_add_u32_e32 v0, -1, v18
	v_and_b32_e32 v0, 7, v0
	v_mad_u64_u32 v[0:1], s[10:11], v0, 24, v[16:17]
	v_add_co_u32_e32 v0, vcc, 8, v0
	v_addc_co_u32_e32 v1, vcc, 0, v1, vcc
	s_mov_b64 s[10:11], 0
	v_mov_b32_e32 v2, 0
	s_movk_i32 s24, 0x270e
                                        ; implicit-def: $sgpr12_sgpr13
	s_branch .LBB4_1322
.LBB4_1318:                             ;   in Loop: Header=BB4_1322 Depth=1
	s_or_b64 exec, exec, s[22:23]
	v_mov_b32_e32 v3, 0
	s_orn2_b64 s[20:21], s[20:21], exec
.LBB4_1319:                             ;   in Loop: Header=BB4_1322 Depth=1
	s_or_b64 exec, exec, s[18:19]
	s_and_b64 s[18:19], s[20:21], exec
	v_mov_b32_e32 v2, v3
.LBB4_1320:                             ;   in Loop: Header=BB4_1322 Depth=1
	s_or_b64 exec, exec, s[16:17]
	s_xor_b64 s[16:17], s[18:19], -1
	s_andn2_b64 s[12:13], s[12:13], exec
	s_and_b64 s[16:17], s[16:17], exec
	s_or_b64 s[12:13], s[12:13], s[16:17]
.LBB4_1321:                             ;   in Loop: Header=BB4_1322 Depth=1
	s_or_b64 exec, exec, s[14:15]
	s_and_b64 s[14:15], exec, s[12:13]
	s_or_b64 s[10:11], s[14:15], s[10:11]
	s_andn2_b64 exec, exec, s[10:11]
	s_cbranch_execz .LBB4_1327
.LBB4_1322:                             ; =>This Inner Loop Header: Depth=1
	s_waitcnt lgkmcnt(0)
	flat_load_dwordx2 v[4:5], v[0:1] glc
	s_waitcnt vmcnt(0)
	s_or_b64 s[12:13], s[12:13], exec
	s_waitcnt lgkmcnt(0)
	v_cmp_ne_u64_e32 vcc, -1, v[4:5]
	s_and_saveexec_b64 s[14:15], vcc
	s_cbranch_execz .LBB4_1321
; %bb.1323:                             ;   in Loop: Header=BB4_1322 Depth=1
	v_and_b32_e32 v3, 64, v62
	v_cmp_eq_u32_e32 vcc, 0, v3
	s_mov_b64 s[18:19], 0
	s_and_saveexec_b64 s[16:17], vcc
	s_cbranch_execz .LBB4_1320
; %bb.1324:                             ;   in Loop: Header=BB4_1322 Depth=1
	v_add_u32_e32 v3, 1, v2
	v_cmp_lt_i32_e32 vcc, s24, v2
	s_mov_b64 s[20:21], -1
	s_and_saveexec_b64 s[18:19], vcc
	s_cbranch_execz .LBB4_1319
; %bb.1325:                             ;   in Loop: Header=BB4_1322 Depth=1
	s_trap 2
	ds_read_b64 v[2:3], v0
	s_waitcnt lgkmcnt(0)
	flat_load_dword v2, v[2:3] glc
	s_waitcnt vmcnt(0) lgkmcnt(0)
	buffer_invl2
	buffer_wbinvl1_vol
	v_cmp_ne_u32_e32 vcc, 0, v2
	s_and_saveexec_b64 s[22:23], vcc
	s_cbranch_execz .LBB4_1318
; %bb.1326:                             ;   in Loop: Header=BB4_1322 Depth=1
	v_or_b32_e32 v62, 64, v62
	s_xor_b64 s[20:21], exec, -1
	ds_write_b32 v0, v2
	s_trap 2
	s_branch .LBB4_1318
.LBB4_1327:
	s_or_b64 exec, exec, s[10:11]
.LBB4_1328:
	s_or_b64 exec, exec, s[6:7]
	v_and_b32_e32 v0, 0x2000, v62
	v_cmp_ne_u32_e32 vcc, 0, v0
	s_and_saveexec_b64 s[6:7], vcc
	s_cbranch_execz .LBB4_1330
; %bb.1329:
	s_trap 2
	ds_read_b64 v[0:1], v0
	v_accvgpr_read_b32 v2, a6
	v_accvgpr_read_b32 v3, a7
	s_waitcnt lgkmcnt(0)
	flat_store_dwordx2 v[2:3], v[0:1] offset:16
.LBB4_1330:
	s_or_b64 exec, exec, s[6:7]
	v_cmp_ne_u32_e32 vcc, 64, v56
	s_and_b64 exec, exec, vcc
	s_cbranch_execz .LBB4_1348
; %bb.1331:
	v_cmp_ne_u32_sdwa s[6:7], v27, v56 src0_sel:WORD_0 src1_sel:DWORD
	s_and_saveexec_b64 s[10:11], s[6:7]
	s_xor_b64 s[6:7], exec, s[10:11]
	s_cbranch_execz .LBB4_1346
; %bb.1332:
	v_and_b32_e32 v0, 63, v31
	v_cmp_eq_u32_e32 vcc, 0, v0
	s_and_saveexec_b64 s[10:11], vcc
	s_cbranch_execz .LBB4_1345
; %bb.1333:
	s_mov_b64 s[14:15], exec
	v_mbcnt_lo_u32_b32 v0, s14, 0
	v_mbcnt_hi_u32_b32 v0, s15, v0
	v_cmp_eq_u32_e32 vcc, 0, v0
	s_waitcnt vmcnt(0) lgkmcnt(0)
	buffer_wbinvl1_vol
	s_and_saveexec_b64 s[12:13], vcc
	s_cbranch_execz .LBB4_1335
; %bb.1334:
	s_bcnt1_i32_b64 s14, s[14:15]
	v_mov_b32_e32 v0, s14
	v_mov_b32_e32 v1, 0
	ds_add_u64 v0, v[0:1]
	s_trap 2
.LBB4_1335:
	s_or_b64 exec, exec, s[12:13]
	v_ashrrev_i32_e32 v0, 31, v56
	v_lshrrev_b32_e32 v0, 26, v0
	v_add_u32_e32 v0, v56, v0
	v_ashrrev_i32_e32 v0, 6, v0
	s_trap 2
	ds_read_b64 v[2:3], v0
	v_accvgpr_read_b32 v4, a18
	v_ashrrev_i32_e32 v1, 31, v0
	v_accvgpr_read_b32 v5, a19
	v_add_co_u32_e32 v0, vcc, v4, v0
	v_addc_co_u32_e32 v1, vcc, v5, v1, vcc
	s_waitcnt lgkmcnt(0)
	v_cmp_lt_u64_e32 vcc, v[2:3], v[0:1]
	s_and_saveexec_b64 s[12:13], vcc
	s_cbranch_execz .LBB4_1344
; %bb.1336:
	s_mov_b32 s26, 0
	s_mov_b64 s[14:15], 0
                                        ; implicit-def: $sgpr16_sgpr17
                                        ; implicit-def: $sgpr18_sgpr19
	s_branch .LBB4_1338
.LBB4_1337:                             ;   in Loop: Header=BB4_1338 Depth=1
	s_or_b64 exec, exec, s[24:25]
	s_and_b64 s[20:21], exec, s[22:23]
	s_or_b64 s[14:15], s[20:21], s[14:15]
	s_andn2_b64 s[16:17], s[16:17], exec
	s_and_b64 s[20:21], s[18:19], exec
	s_or_b64 s[16:17], s[16:17], s[20:21]
	s_andn2_b64 exec, exec, s[14:15]
	s_cbranch_execz .LBB4_1342
.LBB4_1338:                             ; =>This Inner Loop Header: Depth=1
	s_add_i32 s26, s26, 1
	s_cmpk_lg_i32 s26, 0x2710
	s_cselect_b64 s[20:21], -1, 0
	s_and_b64 vcc, exec, s[20:21]
                                        ; implicit-def: $sgpr24_sgpr25
	s_cbranch_vccnz .LBB4_1340
; %bb.1339:                             ;   in Loop: Header=BB4_1338 Depth=1
	s_trap 2
	ds_read_b64 v[2:3], v0
	s_andn2_b64 s[20:21], s[20:21], exec
	s_mov_b32 s26, 0
	s_mov_b64 s[24:25], -1
	s_waitcnt lgkmcnt(0)
	flat_load_dword v2, v[2:3] glc
	s_waitcnt vmcnt(0) lgkmcnt(0)
	buffer_invl2
	buffer_wbinvl1_vol
	v_cmp_eq_u32_e32 vcc, 0, v2
	s_and_b64 s[22:23], vcc, exec
	s_or_b64 s[20:21], s[20:21], s[22:23]
.LBB4_1340:                             ;   in Loop: Header=BB4_1338 Depth=1
	s_andn2_b64 s[18:19], s[18:19], exec
	s_and_b64 s[24:25], s[24:25], exec
	s_mov_b64 s[22:23], -1
	s_or_b64 s[18:19], s[18:19], s[24:25]
	s_and_saveexec_b64 s[24:25], s[20:21]
	s_cbranch_execz .LBB4_1337
; %bb.1341:                             ;   in Loop: Header=BB4_1338 Depth=1
	s_sleep 1
	s_trap 2
	ds_read_b64 v[2:3], v0
	s_andn2_b64 s[18:19], s[18:19], exec
	s_waitcnt lgkmcnt(0)
	v_cmp_ge_u64_e32 vcc, v[2:3], v[0:1]
	s_orn2_b64 s[22:23], vcc, exec
	s_branch .LBB4_1337
.LBB4_1342:
	s_or_b64 exec, exec, s[14:15]
	s_and_saveexec_b64 s[14:15], s[16:17]
	s_xor_b64 s[14:15], exec, s[14:15]
	s_cbranch_execz .LBB4_1344
; %bb.1343:
	v_mov_b32_e32 v0, 1
	ds_write_b32 v0, v0
	s_trap 2
.LBB4_1344:
	s_or_b64 exec, exec, s[12:13]
	;;#ASMSTART
	s_wakeup
	;;#ASMEND
.LBB4_1345:
	s_or_b64 exec, exec, s[10:11]
.LBB4_1346:
	s_andn2_saveexec_b64 s[6:7], s[6:7]
	s_cbranch_execz .LBB4_1348
; %bb.1347:
	s_waitcnt vmcnt(0) lgkmcnt(0)
	buffer_wbinvl1_vol
	s_barrier
.LBB4_1348:
	s_or_b64 exec, exec, s[4:5]
.LBB4_1349:
	s_andn2_saveexec_b64 s[26:27], s[28:29]
	s_cbranch_execz .LBB4_1351
; %bb.1350:
	s_getpc_b64 s[4:5]
	s_add_u32 s4, s4, __PRETTY_FUNCTION__._ZN10PrimitivesI12hip_bfloat167FuncSumIS0_E12FanSymmetricILi1EELi0E11ProtoSimpleILi1ELi1ELi0ELi1ELi0ELi0EELi0ELb0ELi0ELi1ELi0EEC2EiiPKiS9_PKvPvmhhhP15ncclDevWorkCollP14ncclDevWorkP2pii@rel32@lo+4
	s_addc_u32 s5, s5, __PRETTY_FUNCTION__._ZN10PrimitivesI12hip_bfloat167FuncSumIS0_E12FanSymmetricILi1EELi0E11ProtoSimpleILi1ELi1ELi0ELi1ELi0ELi0EELi0ELb0ELi0ELi1ELi0EEC2EiiPKiS9_PKvPvmhhhP15ncclDevWorkCollP14ncclDevWorkP2pii@rel32@hi+12
	v_mov_b32_e32 v0, s4
	v_mov_b32_e32 v1, s5
	s_getpc_b64 s[6:7]
	s_add_u32 s6, s6, __assert_fail@rel32@lo+4
	s_addc_u32 s7, s7, __assert_fail@rel32@hi+12
	s_swappc_b64 s[30:31], s[6:7]
	; divergent unreachable
.LBB4_1351:
	s_or_b64 exec, exec, s[26:27]
	buffer_load_dword a54, off, s[0:3], s33 ; 4-byte Folded Reload
	buffer_load_dword a53, off, s[0:3], s33 offset:4 ; 4-byte Folded Reload
	buffer_load_dword a52, off, s[0:3], s33 offset:8 ; 4-byte Folded Reload
	;; [unrolled: 1-line block ×37, first 2 shown]
	v_readlane_b32 s30, v63, 39
	v_readlane_b32 s31, v63, 40
	;; [unrolled: 1-line block ×42, first 2 shown]
	s_or_saveexec_b64 s[6:7], -1
	buffer_load_dword v63, off, s[0:3], s33 offset:224 ; 4-byte Folded Reload
	s_mov_b64 exec, s[6:7]
	s_addk_i32 s32, 0xc400
	s_mov_b32 s33, s4
	s_waitcnt vmcnt(0) lgkmcnt(0)
	s_setpc_b64 s[30:31]
.Lfunc_end4:
	.size	_ZN12_GLOBAL__N_17runRingI12hip_bfloat167FuncSumIS1_E11ProtoSimpleILi1ELi1ELi0ELi1ELi0ELi0EELi0ELi1ELi1EEEviiP15ncclDevWorkColl, .Lfunc_end4-_ZN12_GLOBAL__N_17runRingI12hip_bfloat167FuncSumIS1_E11ProtoSimpleILi1ELi1ELi0ELi1ELi0ELi0EELi0ELi1ELi1EEEviiP15ncclDevWorkColl
                                        ; -- End function
	.section	.AMDGPU.csdata,"",@progbits
; Function info:
; codeLenInByte = 40668
; NumSgprs: 77
; NumVgprs: 64
; NumAgprs: 55
; TotalNumVgprs: 119
; ScratchSize: 304
; MemoryBound: 1
	.text
	.p2align	2                               ; -- Begin function _Z45ncclDevFunc_Reduce_RING_SIMPLE_Sum_bf16_0_1_1v
	.type	_Z45ncclDevFunc_Reduce_RING_SIMPLE_Sum_bf16_0_1_1v,@function
_Z45ncclDevFunc_Reduce_RING_SIMPLE_Sum_bf16_0_1_1v: ; @_Z45ncclDevFunc_Reduce_RING_SIMPLE_Sum_bf16_0_1_1v
; %bb.0:
	s_waitcnt vmcnt(0) expcnt(0) lgkmcnt(0)
	s_mov_b32 s4, s33
	s_mov_b32 s33, s32
	s_or_saveexec_b64 s[6:7], -1
	buffer_store_dword v43, off, s[0:3], s33 offset:16 ; 4-byte Folded Spill
	s_mov_b64 exec, s[6:7]
	v_writelane_b32 v43, s4, 49
	s_addk_i32 s32, 0x800
	buffer_store_dword v40, off, s[0:3], s33 offset:12 ; 4-byte Folded Spill
	buffer_store_dword v41, off, s[0:3], s33 offset:8 ; 4-byte Folded Spill
	;; [unrolled: 1-line block ×3, first 2 shown]
	buffer_store_dword v63, off, s[0:3], s33 ; 4-byte Folded Spill
	v_writelane_b32 v43, s34, 0
	v_writelane_b32 v43, s35, 1
	;; [unrolled: 1-line block ×49, first 2 shown]
	s_trap 2
	ds_read_b32 v0, v0
	v_mov_b32_e32 v40, v31
	s_mov_b32 s73, s12
	s_mov_b64 s[74:75], s[8:9]
	s_waitcnt lgkmcnt(0)
	v_cmp_gt_i32_e32 vcc, 1, v0
	s_cbranch_vccnz .LBB5_8
; %bb.1:
	s_mov_b32 s80, 0
	v_and_b32_e32 v41, 0x3ff, v40
	s_mov_b64 s[76:77], src_shared_base
	v_mov_b32_e32 v42, 6
	s_branch .LBB5_3
.LBB5_2:                                ;   in Loop: Header=BB5_3 Depth=1
	s_or_b64 exec, exec, s[78:79]
	s_trap 2
	ds_read_b32 v0, v0
	s_add_i32 s80, s80, 1
	s_waitcnt lgkmcnt(0)
	v_cmp_lt_i32_e32 vcc, s80, v0
	s_cbranch_vccz .LBB5_8
.LBB5_3:                                ; =>This Inner Loop Header: Depth=1
	s_trap 2
	ds_read_b32 v0, v0
	s_cmp_eq_u32 s80, 0
	s_cbranch_scc1 .LBB5_6
; %bb.4:                                ;   in Loop: Header=BB5_3 Depth=1
	s_trap 2
	s_waitcnt lgkmcnt(0)
	ds_read_b32 v1, v0
	s_waitcnt lgkmcnt(0)
	v_xor_b32_e32 v1, v1, v0
	v_and_b32_e32 v1, 0xff0000, v1
	v_cmp_eq_u32_e32 vcc, 0, v1
	s_cbranch_vccnz .LBB5_6
; %bb.5:                                ;   in Loop: Header=BB5_3 Depth=1
	s_barrier
	ds_read_b32 v0, v0
.LBB5_6:                                ;   in Loop: Header=BB5_3 Depth=1
	s_waitcnt lgkmcnt(0)
	v_lshlrev_b32_sdwa v1, v42, v0 dst_sel:DWORD dst_unused:UNUSED_PAD src0_sel:DWORD src1_sel:BYTE_2
	v_cmp_lt_u32_e32 vcc, v41, v1
	s_and_saveexec_b64 s[78:79], vcc
	s_cbranch_execz .LBB5_2
; %bb.7:                                ;   in Loop: Header=BB5_3 Depth=1
	s_mov_b64 s[8:9], s[74:75]
	s_mov_b32 s12, s73
	v_mov_b32_e32 v31, v40
	v_mov_b32_e32 v0, v41
	;; [unrolled: 1-line block ×3, first 2 shown]
	s_getpc_b64 s[4:5]
	s_add_u32 s4, s4, _ZN12_GLOBAL__N_17runRingI12hip_bfloat167FuncSumIS1_E11ProtoSimpleILi1ELi1ELi0ELi1ELi0ELi0EELi0ELi1ELi1EEEviiP15ncclDevWorkColl@rel32@lo+4
	s_addc_u32 s5, s5, _ZN12_GLOBAL__N_17runRingI12hip_bfloat167FuncSumIS1_E11ProtoSimpleILi1ELi1ELi0ELi1ELi0ELi0EELi0ELi1ELi1EEEviiP15ncclDevWorkColl@rel32@hi+12
	s_swappc_b64 s[30:31], s[4:5]
	s_branch .LBB5_2
.LBB5_8:
	buffer_load_dword v63, off, s[0:3], s33 ; 4-byte Folded Reload
	buffer_load_dword v42, off, s[0:3], s33 offset:4 ; 4-byte Folded Reload
	buffer_load_dword v41, off, s[0:3], s33 offset:8 ; 4-byte Folded Reload
	;; [unrolled: 1-line block ×3, first 2 shown]
	v_readlane_b32 s30, v43, 47
	v_readlane_b32 s31, v43, 48
	;; [unrolled: 1-line block ×50, first 2 shown]
	s_or_saveexec_b64 s[6:7], -1
	buffer_load_dword v43, off, s[0:3], s33 offset:16 ; 4-byte Folded Reload
	s_mov_b64 exec, s[6:7]
	s_addk_i32 s32, 0xf800
	s_mov_b32 s33, s4
	s_waitcnt vmcnt(0)
	s_setpc_b64 s[30:31]
.Lfunc_end5:
	.size	_Z45ncclDevFunc_Reduce_RING_SIMPLE_Sum_bf16_0_1_1v, .Lfunc_end5-_Z45ncclDevFunc_Reduce_RING_SIMPLE_Sum_bf16_0_1_1v
                                        ; -- End function
	.section	.AMDGPU.csdata,"",@progbits
; Function info:
; codeLenInByte = 1164
; NumSgprs: 85
; NumVgprs: 64
; NumAgprs: 55
; TotalNumVgprs: 119
; ScratchSize: 336
; MemoryBound: 0
	.text
	.p2align	2                               ; -- Begin function _ZN12_GLOBAL__N_17runRingI12hip_bfloat167FuncSumIS1_E11ProtoSimpleILi1ELi1ELi0ELi2ELi0ELi0EELi0ELi2ELi0EEEviiP15ncclDevWorkColl
	.type	_ZN12_GLOBAL__N_17runRingI12hip_bfloat167FuncSumIS1_E11ProtoSimpleILi1ELi1ELi0ELi2ELi0ELi0EELi0ELi2ELi0EEEviiP15ncclDevWorkColl,@function
_ZN12_GLOBAL__N_17runRingI12hip_bfloat167FuncSumIS1_E11ProtoSimpleILi1ELi1ELi0ELi2ELi0ELi0EELi0ELi2ELi0EEEviiP15ncclDevWorkColl: ; @_ZN12_GLOBAL__N_17runRingI12hip_bfloat167FuncSumIS1_E11ProtoSimpleILi1ELi1ELi0ELi2ELi0ELi0EELi0ELi2ELi0EEEviiP15ncclDevWorkColl
; %bb.0:
	s_waitcnt vmcnt(0) expcnt(0) lgkmcnt(0)
	s_mov_b32 s4, s33
	s_mov_b32 s33, s32
	s_or_saveexec_b64 s[6:7], -1
	buffer_store_dword v63, off, s[0:3], s33 offset:32 ; 4-byte Folded Spill
	s_mov_b64 exec, s[6:7]
	v_writelane_b32 v63, s4, 38
	v_accvgpr_write_b32 a23, v40            ;  Reload Reuse
	s_addk_i32 s32, 0xc00
	v_accvgpr_write_b32 a26, v41            ;  Reload Reuse
	v_accvgpr_write_b32 a27, v42            ;  Reload Reuse
	;; [unrolled: 1-line block ×6, first 2 shown]
	buffer_store_dword v47, off, s[0:3], s33 offset:28 ; 4-byte Folded Spill
	buffer_store_dword v56, off, s[0:3], s33 offset:24 ; 4-byte Folded Spill
	;; [unrolled: 1-line block ×7, first 2 shown]
	buffer_store_dword v62, off, s[0:3], s33 ; 4-byte Folded Spill
	v_writelane_b32 v63, s34, 0
	v_writelane_b32 v63, s35, 1
	;; [unrolled: 1-line block ×38, first 2 shown]
	s_trap 2
	ds_read_b64 v[14:15], v0
	ds_read_b32 v6, v0
	v_mov_b32_e32 v56, v1
	flat_load_ushort v17, v[2:3] offset:8
	flat_load_dwordx2 v[8:9], v[2:3]
                                        ; implicit-def: $vgpr18_vgpr19
                                        ; implicit-def: $vgpr44_vgpr45
                                        ; implicit-def: $vgpr52_vgpr53
	s_waitcnt lgkmcnt(0)
	v_ashrrev_i32_e32 v5, 31, v15
	v_mov_b32_e32 v4, v15
	v_lshlrev_b64 v[4:5], 2, v[4:5]
	v_add_co_u32_e32 v1, vcc, v14, v4
	v_addc_co_u32_e32 v5, vcc, v15, v5, vcc
	v_add_co_u32_e32 v4, vcc, -4, v1
	v_addc_co_u32_e32 v5, vcc, -1, v5, vcc
	flat_load_dword v24, v[4:5]
	s_waitcnt vmcnt(0)
	v_mov_b32_e32 v16, v9
	v_cmp_ne_u32_sdwa s[4:5], v8, v6 src0_sel:BYTE_0 src1_sel:DWORD
	s_and_saveexec_b64 s[6:7], s[4:5]
	s_xor_b64 s[4:5], exec, s[6:7]
	s_cbranch_execz .LBB6_6
; %bb.1:
	v_not_b32_sdwa v1, v8 dst_sel:DWORD dst_unused:UNUSED_PAD src0_sel:BYTE_0
	v_cmp_ne_u32_sdwa s[6:7], v8, v6 src0_sel:BYTE_1 src1_sel:DWORD
                                        ; implicit-def: $vgpr18_vgpr19
                                        ; implicit-def: $vgpr44_vgpr45
                                        ; implicit-def: $vgpr52_vgpr53
	s_and_saveexec_b64 s[10:11], s[6:7]
	s_xor_b64 s[6:7], exec, s[10:11]
	s_cbranch_execz .LBB6_3
; %bb.2:
	flat_load_dwordx4 v[8:11], v[2:3] offset:72
	flat_load_dwordx2 v[4:5], v[2:3] offset:96
	v_add_u32_e32 v1, v6, v1
	v_ashrrev_i32_e32 v6, 31, v1
	s_waitcnt vmcnt(0) lgkmcnt(0)
	v_mul_lo_u32 v6, v10, v6
	v_mad_u64_u32 v[52:53], s[10:11], v10, v1, v[8:9]
	v_mul_lo_u32 v1, v11, v1
	v_lshrrev_b64 v[18:19], 13, v[4:5]
	v_add3_u32 v53, v1, v53, v6
	v_pk_mov_b32 v[44:45], v[10:11], v[10:11] op_sel:[0,1]
                                        ; implicit-def: $vgpr8
                                        ; implicit-def: $vgpr1
.LBB6_3:
	s_andn2_saveexec_b64 s[6:7], s[6:7]
	s_cbranch_execz .LBB6_5
; %bb.4:
	flat_load_dwordx4 v[10:13], v[2:3] offset:72
	flat_load_dwordx4 v[44:47], v[2:3] offset:88
	v_add_u32_sdwa v1, v8, v1 dst_sel:DWORD dst_unused:UNUSED_PAD src0_sel:BYTE_1 src1_sel:DWORD
	v_ashrrev_i32_e32 v4, 31, v1
	s_waitcnt vmcnt(0) lgkmcnt(0)
	v_mul_lo_u32 v4, v12, v4
	v_mad_u64_u32 v[52:53], s[10:11], v12, v1, v[10:11]
	v_mul_lo_u32 v1, v13, v1
	v_add3_u32 v53, v1, v53, v4
	v_lshrrev_b32_e32 v18, 2, v47
.LBB6_5:
	s_or_b64 exec, exec, s[6:7]
.LBB6_6:
	s_andn2_saveexec_b64 s[4:5], s[4:5]
	s_cbranch_execz .LBB6_8
; %bb.7:
	flat_load_dwordx2 v[4:5], v[2:3] offset:96
	flat_load_dwordx2 v[44:45], v[2:3] offset:72
	v_pk_mov_b32 v[52:53], 0, 0
	s_waitcnt vmcnt(0) lgkmcnt(0)
	v_lshlrev_b64 v[18:19], 8, v[4:5]
.LBB6_8:
	s_or_b64 exec, exec, s[4:5]
	s_trap 2
	ds_read_b64 v[4:5], v0
	s_waitcnt lgkmcnt(0)
	v_cmp_ne_u32_e32 vcc, -1, v4
	v_cndmask_b32_e64 v15, 0, 1, vcc
	v_cmp_ne_u32_e32 vcc, -1, v5
	v_addc_co_u32_e64 v1, s[4:5], 0, v15, vcc
	v_lshlrev_b32_e32 v4, 1, v1
	v_cmp_le_i32_e64 s[4:5], v4, v56
	s_and_saveexec_b64 s[6:7], s[4:5]
	s_xor_b64 s[24:25], exec, s[6:7]
	s_cbranch_execz .LBB6_836
; %bb.9:
	flat_load_dwordx4 v[10:13], v[2:3] offset:16
	flat_load_dwordx2 v[20:21], v[2:3] offset:104
	s_trap 2
	s_load_dword s4, s[8:9], 0x0
	v_mov_b32_e32 v2, 0
	v_mov_b32_e32 v54, 4
	s_waitcnt lgkmcnt(0)
	s_cmp_lt_u32 s12, s4
	s_cselect_b32 s4, 12, 18
	s_add_u32 s4, s8, s4
	s_addc_u32 s5, s9, 0
	global_load_ushort v58, v2, s[4:5]
	ds_read_b32 v2, v0
	v_cmp_ge_i32_e64 s[4:5], v0, v15
	s_waitcnt lgkmcnt(0)
	v_readfirstlane_b32 s12, v2
	s_and_saveexec_b64 s[6:7], s[4:5]
	s_cbranch_execz .LBB6_19
; %bb.10:
	v_cmp_le_u32_e64 s[4:5], v1, v0
                                        ; implicit-def: $vgpr54
	s_and_saveexec_b64 s[10:11], s[4:5]
	s_xor_b64 s[4:5], exec, s[10:11]
	s_cbranch_execz .LBB6_16
; %bb.11:
	v_cndmask_b32_e64 v2, 0, 1, vcc
	v_sub_u32_e32 v2, v56, v2
	v_cmp_ge_u32_e32 vcc, v0, v2
                                        ; implicit-def: $sgpr13
	s_and_saveexec_b64 s[10:11], vcc
	s_xor_b64 s[10:11], exec, s[10:11]
; %bb.12:
	s_mov_b32 s13, 16
                                        ; implicit-def: $vgpr1
; %bb.13:
	s_or_saveexec_b64 s[10:11], s[10:11]
	v_mov_b32_e32 v54, s13
	s_xor_b64 exec, exec, s[10:11]
; %bb.14:
	v_sub_u32_e32 v1, v56, v1
	v_cmp_ge_i32_e32 vcc, v0, v1
	v_cndmask_b32_e64 v1, 0, 1, vcc
	v_lshlrev_b32_e32 v54, 5, v1
; %bb.15:
	s_or_b64 exec, exec, s[10:11]
.LBB6_16:
	s_andn2_saveexec_b64 s[4:5], s[4:5]
; %bb.17:
	v_mov_b32_e32 v54, 8
; %bb.18:
	s_or_b64 exec, exec, s[4:5]
.LBB6_19:
	s_or_b64 exec, exec, s[6:7]
	v_and_b32_e32 v1, 36, v54
	v_cmp_ne_u32_e32 vcc, 0, v1
	v_mov_b32_e32 v22, -1
	s_and_saveexec_b64 s[4:5], vcc
	s_cbranch_execz .LBB6_21
; %bb.20:
	s_trap 2
	ds_read_b32 v22, v0
.LBB6_21:
	s_or_b64 exec, exec, s[4:5]
	v_and_b32_e32 v1, 24, v54
	v_cmp_ne_u32_e64 s[4:5], 0, v1
	s_and_saveexec_b64 s[6:7], s[4:5]
	s_cbranch_execz .LBB6_23
; %bb.22:
	s_trap 2
	s_waitcnt lgkmcnt(0)
	ds_read_b32 v22, v0
.LBB6_23:
	s_or_b64 exec, exec, s[6:7]
	v_lshrrev_b64 v[2:3], 31, v[16:17]
	v_pk_mov_b32 v[60:61], 0, 0
	v_and_b32_e32 v1, 3, v2
	s_waitcnt lgkmcnt(0)
	v_ashrrev_i32_e32 v23, 31, v22
	v_pk_mov_b32 v[6:7], v[60:61], v[60:61] op_sel:[0,1]
                                        ; implicit-def: $agpr6_agpr7
                                        ; implicit-def: $agpr14
                                        ; implicit-def: $vgpr36_vgpr37
                                        ; implicit-def: $vgpr34_vgpr35
                                        ; implicit-def: $vgpr32_vgpr33
	s_and_saveexec_b64 s[4:5], vcc
	s_cbranch_execz .LBB6_33
; %bb.24:
	s_trap 2
	ds_read_b64 v[2:3], v0
	v_lshlrev_b64 v[4:5], 3, v[22:23]
	s_movk_i32 s6, 0xa8
                                        ; implicit-def: $agpr6_agpr7
	s_waitcnt lgkmcnt(0)
	v_add_co_u32_e32 v2, vcc, v2, v4
	v_addc_co_u32_e32 v3, vcc, v3, v5, vcc
	flat_load_dwordx2 v[2:3], v[2:3]
	v_and_b32_e32 v4, 0xffff, v1
	s_waitcnt vmcnt(0) lgkmcnt(0)
	v_mad_u64_u32 v[2:3], s[6:7], v4, s6, v[2:3]
	flat_load_dword v4, v[2:3] offset:640
	v_add_co_u32_e32 v60, vcc, 0x1f8, v2
	v_addc_co_u32_e32 v61, vcc, 0, v3, vcc
	s_waitcnt vmcnt(0) lgkmcnt(0)
	v_cmp_eq_u32_e32 vcc, 1, v4
	s_and_saveexec_b64 s[6:7], vcc
	s_cbranch_execz .LBB6_26
; %bb.25:
	flat_load_dwordx2 v[4:5], v[60:61] offset:144
	v_or_b32_e32 v54, 0x2000, v54
	s_waitcnt vmcnt(0) lgkmcnt(0)
	flat_load_dwordx2 v[2:3], v[4:5]
	s_trap 2
	v_accvgpr_write_b32 a7, v5
	v_accvgpr_write_b32 a6, v4
	s_waitcnt vmcnt(0) lgkmcnt(0)
	ds_write_b64 v0, v[2:3]
	flat_load_dwordx2 v[2:3], v[4:5] offset:8
	s_waitcnt vmcnt(0) lgkmcnt(0)
	ds_write_b64 v0, v[2:3]
	flat_load_dwordx2 v[2:3], v[4:5] offset:16
	s_waitcnt vmcnt(0) lgkmcnt(0)
	ds_write_b64 v0, v[2:3]
.LBB6_26:
	s_or_b64 exec, exec, s[6:7]
	flat_load_dwordx2 v[8:9], v[60:61] offset:104
	v_and_b32_e32 v2, 32, v54
	v_cmp_ne_u32_e32 vcc, 0, v2
                                        ; implicit-def: $vgpr32_vgpr33
	s_and_saveexec_b64 s[6:7], vcc
	s_cbranch_execz .LBB6_28
; %bb.27:
	flat_load_dwordx2 v[32:33], v[60:61] offset:56
	s_waitcnt vmcnt(0) lgkmcnt(0)
	flat_store_dwordx2 v[32:33], v[8:9]
.LBB6_28:
	s_or_b64 exec, exec, s[6:7]
	v_and_b32_e32 v2, 4, v54
	v_cmp_ne_u32_e32 vcc, 0, v2
	v_pk_mov_b32 v[6:7], 0, 0
                                        ; implicit-def: $agpr14
                                        ; implicit-def: $vgpr36_vgpr37
                                        ; implicit-def: $vgpr34_vgpr35
	s_and_saveexec_b64 s[6:7], vcc
	s_cbranch_execz .LBB6_32
; %bb.29:
	v_and_b32_e32 v2, 0x800, v54
	v_cmp_eq_u32_e32 vcc, 0, v2
	s_and_saveexec_b64 s[10:11], vcc
	s_cbranch_execz .LBB6_31
; %bb.30:
	s_trap 2
	ds_write_b64 v0, v[60:61]
.LBB6_31:
	s_or_b64 exec, exec, s[10:11]
	flat_load_dwordx2 v[32:33], v[60:61] offset:48
	v_or_b32_e32 v3, 0x100, v54
	s_waitcnt vmcnt(0) lgkmcnt(0)
	flat_load_dwordx2 v[36:37], v[32:33] glc
	flat_load_dword v2, v[60:61] offset:72
	flat_load_dwordx2 v[6:7], v[60:61] offset:96
	flat_load_dwordx2 v[34:35], v[60:61] offset:16
	s_waitcnt vmcnt(0) lgkmcnt(0)
	v_ashrrev_i32_e32 v2, 1, v2
	v_cmp_eq_u64_e32 vcc, 0, v[6:7]
	v_accvgpr_write_b32 a14, v2
	v_cndmask_b32_e32 v54, v3, v54, vcc
.LBB6_32:
	s_or_b64 exec, exec, s[6:7]
.LBB6_33:
	s_or_b64 exec, exec, s[4:5]
	v_and_b32_e32 v2, 24, v54
	v_cmp_ne_u32_e32 vcc, 0, v2
                                        ; implicit-def: $agpr16_agpr17
	s_and_saveexec_b64 s[4:5], vcc
	s_cbranch_execz .LBB6_41
; %bb.34:
	s_trap 2
	ds_read_b64 v[2:3], v0
	v_lshlrev_b64 v[4:5], 3, v[22:23]
	v_and_b32_e32 v1, 0xffff, v1
	s_movk_i32 s6, 0xa8
                                        ; implicit-def: $agpr16_agpr17
	s_waitcnt lgkmcnt(0)
	v_add_co_u32_e32 v2, vcc, v2, v4
	v_addc_co_u32_e32 v3, vcc, v3, v5, vcc
	flat_load_dwordx2 v[2:3], v[2:3]
	s_waitcnt vmcnt(0) lgkmcnt(0)
	v_mad_u64_u32 v[60:61], s[6:7], v1, s6, v[2:3]
	flat_load_dwordx4 v[6:9], v[60:61] offset:96
	v_or_b32_e32 v1, 0x100, v54
	s_waitcnt vmcnt(0) lgkmcnt(0)
	v_cmp_eq_u64_e32 vcc, 0, v[6:7]
	v_cndmask_b32_e32 v54, v1, v54, vcc
	v_and_b32_e32 v1, 16, v54
	v_cmp_ne_u32_e32 vcc, 0, v1
	s_and_saveexec_b64 s[6:7], vcc
	s_cbranch_execz .LBB6_36
; %bb.35:
	flat_load_dwordx2 a[16:17], v[60:61] offset:120
	flat_load_dwordx2 v[32:33], v[60:61] offset:48
	flat_load_dwordx2 v[34:35], v[60:61] offset:16
.LBB6_36:
	s_or_b64 exec, exec, s[6:7]
	v_and_b32_e32 v1, 8, v54
	v_cmp_ne_u32_e32 vcc, 0, v1
	s_and_saveexec_b64 s[6:7], vcc
	s_cbranch_execz .LBB6_40
; %bb.37:
	v_and_b32_e32 v1, 0x800, v54
	v_cmp_eq_u32_e32 vcc, 0, v1
	s_and_saveexec_b64 s[10:11], vcc
	s_cbranch_execz .LBB6_39
; %bb.38:
	s_trap 2
	ds_write_b64 v0, v[60:61]
.LBB6_39:
	s_or_b64 exec, exec, s[10:11]
	s_waitcnt vmcnt(0) lgkmcnt(0)
	flat_load_dwordx2 v[32:33], v[60:61] offset:56
	s_waitcnt vmcnt(0) lgkmcnt(0)
	flat_load_dwordx2 v[36:37], v[32:33] glc
	flat_load_dword v1, v[60:61] offset:72
	flat_load_dwordx2 v[34:35], v[60:61] offset:16
	s_waitcnt vmcnt(0) lgkmcnt(0)
	v_ashrrev_i32_e32 v2, 1, v1
	v_accvgpr_write_b32 a14, v2
.LBB6_40:
	s_or_b64 exec, exec, s[6:7]
.LBB6_41:
	s_or_b64 exec, exec, s[4:5]
	v_cmp_eq_u32_e64 s[4:5], 0, v0
	s_and_saveexec_b64 s[6:7], s[4:5]
	s_cbranch_execz .LBB6_43
; %bb.42:
	s_waitcnt vmcnt(0)
	v_mov_b32_e32 v2, v12
	v_mov_b32_e32 v3, v13
	;; [unrolled: 1-line block ×4, first 2 shown]
	ds_write2_b64 v0, v[2:3], v[4:5] offset1:1
	v_mov_b32_e32 v2, 0
	v_mov_b32_e32 v3, v2
	s_trap 2
	ds_write_b64 v0, v[2:3]
	ds_write_b64 v0, v[20:21]
.LBB6_43:
	s_or_b64 exec, exec, s[6:7]
	s_ashr_i32 s6, s12, 31
	s_lshr_b32 s6, s6, 29
	s_add_i32 s12, s12, s6
	v_bfe_u32 v1, v16, 1, 30
	v_and_b32_e32 v48, 0x1fffff00, v18
	v_mov_b32_e32 v49, 0
	s_ashr_i32 s62, s12, 4
	v_cmp_ne_u32_e32 vcc, v24, v1
                                        ; implicit-def: $vgpr38_vgpr39
	s_and_saveexec_b64 s[6:7], vcc
	s_xor_b64 s[26:27], exec, s[6:7]
	s_cbranch_execz .LBB6_627
; %bb.44:
	v_cmp_ne_u32_e32 vcc, v14, v1
	v_cmp_ne_u64_e64 s[6:7], 0, v[44:45]
                                        ; implicit-def: $vgpr38_vgpr39
	s_and_saveexec_b64 s[10:11], vcc
	s_xor_b64 s[28:29], exec, s[10:11]
	s_cbranch_execz .LBB6_341
; %bb.45:
	v_pk_mov_b32 v[38:39], 0, 0
	s_and_saveexec_b64 s[30:31], s[6:7]
	s_cbranch_execz .LBB6_340
; %bb.46:
	v_and_b32_e32 v1, 63, v31
	v_cmp_eq_u32_e64 s[14:15], 0, v1
	v_ashrrev_i32_e32 v1, 31, v0
	v_lshrrev_b32_e32 v1, 26, v1
	v_accvgpr_read_b32 v2, a14
	v_add_u32_e32 v1, v0, v1
	v_ashrrev_i32_e32 v57, 31, v2
	s_waitcnt vmcnt(0)
	v_accvgpr_write_b32 a2, v58
	v_cmp_ne_u32_sdwa s[34:35], v58, v56 src0_sel:WORD_0 src1_sel:DWORD
	v_and_b32_e32 v2, 0xffffffc0, v1
	v_ashrrev_i32_e32 v58, 6, v1
	v_sub_u32_e32 v2, v0, v2
	v_lshlrev_b32_e32 v1, 11, v58
	v_cmp_le_i32_e64 s[16:17], v2, v15
	v_cmp_lt_i32_e64 s[18:19], v2, v15
	v_accvgpr_write_b32 a15, v2
	v_lshl_add_u32 v2, v2, 4, v1
	v_ashrrev_i32_e32 v1, 31, v2
	v_lshrrev_b32_e32 v30, 6, v56
	v_accvgpr_write_b32 a19, v1
	v_mov_b32_e32 v1, 0xfffff800
	v_lshl_add_u32 v1, v30, 11, v1
	s_movk_i32 s20, 0x800
	v_accvgpr_write_b32 a20, v2
	v_ashrrev_i32_e32 v2, 31, v1
	v_add_co_u32_e64 v27, s[20:21], s20, v1
	v_addc_co_u32_e64 v55, s[20:21], 0, v2, s[20:21]
	v_lshlrev_b32_e32 v59, 10, v30
	v_add_u32_e32 v1, 0xfffffc00, v59
	s_movk_i32 s20, 0x400
	v_ashrrev_i32_e32 v2, 31, v1
	v_add_co_u32_e64 v26, s[20:21], s20, v1
	v_addc_co_u32_e64 v62, s[20:21], 0, v2, s[20:21]
	v_mov_b32_e32 v1, 0xfffffe00
	v_lshl_add_u32 v1, v30, 9, v1
	s_movk_i32 s20, 0x200
	v_accvgpr_write_b32 a1, v31
	v_ashrrev_i32_e32 v2, 31, v1
	v_add_co_u32_e64 v31, s[20:21], s20, v1
	v_addc_co_u32_e64 v2, s[20:21], 0, v2, s[20:21]
	v_lshlrev_b32_e32 v42, 7, v30
	v_add_u32_e32 v1, 0xffffff80, v42
	s_movk_i32 s20, 0x80
	v_ashrrev_i32_e32 v3, 31, v1
	v_add_co_u32_e64 v50, s[20:21], s20, v1
	s_waitcnt lgkmcnt(0)
	v_accvgpr_read_b32 v4, a16
	v_addc_co_u32_e64 v51, s[20:21], 0, v3, s[20:21]
	v_accvgpr_read_b32 v5, a17
	v_accvgpr_write_b32 a13, v9
	s_lshr_b32 s10, s62, 27
	v_cmp_eq_u64_e64 s[20:21], 0, v[4:5]
	v_lshlrev_b64 v[4:5], 1, v[52:53]
	v_accvgpr_write_b32 a12, v8
	v_accvgpr_write_b32 a11, v7
	;; [unrolled: 1-line block ×3, first 2 shown]
	s_add_i32 s10, s62, s10
	v_cmp_eq_u32_e32 vcc, 64, v56
	v_pk_mov_b32 v[6:7], v[44:45], v[44:45] op_sel:[0,1]
	v_pk_mov_b32 v[44:45], 0, 0
	v_accvgpr_write_b32 a25, v5
	s_ashr_i32 s63, s10, 5
	v_cmp_ge_i32_e64 s[10:11], v0, v56
	v_cmp_ne_u32_e64 s[12:13], 64, v56
	v_accvgpr_write_b32 a0, v56
	v_mov_b32_e32 v40, 0
	s_mov_b64 s[36:37], 0
	s_movk_i32 s64, 0x270e
	s_movk_i32 s65, 0x108
	s_xor_b64 s[38:39], vcc, -1
	s_mov_b32 s66, 0x7f800000
	s_movk_i32 s67, 0x7fff
	s_mov_b32 s68, 0xffff0000
	v_accvgpr_write_b32 a24, v4
	v_mov_b32_e32 v21, 1
	v_pk_mov_b32 v[38:39], v[44:45], v[44:45] op_sel:[0,1]
	v_accvgpr_write_b32 a22, v42
	s_trap 2
	s_branch .LBB6_49
.LBB6_47:                               ;   in Loop: Header=BB6_49 Depth=1
	s_or_b64 exec, exec, s[22:23]
.LBB6_48:                               ;   in Loop: Header=BB6_49 Depth=1
	s_or_b64 exec, exec, s[42:43]
	v_add_co_u32_e32 v44, vcc, v44, v48
	v_accvgpr_read_b32 v7, a5
	v_addc_co_u32_e32 v45, vcc, 0, v45, vcc
	v_accvgpr_read_b32 v6, a4
	v_cmp_ge_u64_e32 vcc, v[44:45], v[6:7]
	s_or_b64 s[36:37], vcc, s[36:37]
	s_andn2_b64 exec, exec, s[36:37]
	s_cbranch_execz .LBB6_339
.LBB6_49:                               ; =>This Loop Header: Depth=1
                                        ;     Child Loop BB6_58 Depth 2
                                        ;     Child Loop BB6_86 Depth 2
	;; [unrolled: 1-line block ×10, first 2 shown]
	v_sub_co_u32_e32 v4, vcc, v6, v44
	v_subb_co_u32_e32 v5, vcc, v7, v45, vcc
	v_cmp_lt_u64_e32 vcc, v[48:49], v[4:5]
	v_cndmask_b32_e64 v47, v5, 0, vcc
	v_cndmask_b32_e32 v46, v4, v48, vcc
	v_add_u32_e32 v1, 15, v46
	v_cmp_eq_u64_e32 vcc, 0, v[46:47]
	v_accvgpr_write_b32 a4, v6
	v_and_b32_e32 v1, 0x3ffffff0, v1
	s_or_b64 s[40:41], s[10:11], vcc
	v_accvgpr_write_b32 a5, v7
	v_max_i32_e32 v28, s63, v1
	s_xor_b64 s[22:23], s[40:41], -1
	v_mov_b32_e32 v1, 0
	s_and_saveexec_b64 s[42:43], s[22:23]
	s_cbranch_execz .LBB6_287
; %bb.50:                               ;   in Loop: Header=BB6_49 Depth=1
	s_and_saveexec_b64 s[22:23], s[4:5]
	s_cbranch_execz .LBB6_52
; %bb.51:                               ;   in Loop: Header=BB6_49 Depth=1
	s_trap 2
	ds_read_b64 v[4:5], v0
	v_accvgpr_read_b32 v6, a24
	v_accvgpr_read_b32 v7, a25
	v_mov_b32_e32 v41, v40
	ds_write_b64 v0, v[40:41]
	s_waitcnt lgkmcnt(0)
	v_add_co_u32_e32 v1, vcc, v4, v6
	v_addc_co_u32_e32 v3, vcc, v5, v7, vcc
	v_lshlrev_b64 v[4:5], 1, v[44:45]
	v_add_co_u32_e32 v4, vcc, v1, v4
	v_addc_co_u32_e32 v5, vcc, v3, v5, vcc
	ds_write_b64 v0, v[4:5]
.LBB6_52:                               ;   in Loop: Header=BB6_49 Depth=1
	s_or_b64 exec, exec, s[22:23]
	v_and_b32_e32 v1, 12, v54
	v_cmp_ne_u32_e32 vcc, 0, v1
	s_mov_b64 s[44:45], -1
	s_and_saveexec_b64 s[22:23], vcc
	s_cbranch_execz .LBB6_64
; %bb.53:                               ;   in Loop: Header=BB6_49 Depth=1
	v_and_b32_e32 v10, 8, v54
	v_add_co_u32_e32 v4, vcc, v36, v10
	v_accvgpr_read_b32 v6, a10
	v_addc_co_u32_e32 v5, vcc, 0, v37, vcc
	v_accvgpr_read_b32 v8, a12
	v_accvgpr_read_b32 v9, a13
	v_add_co_u32_e32 v12, vcc, 1, v8
	v_addc_co_u32_e32 v13, vcc, 0, v9, vcc
	v_cmp_lt_u64_e32 vcc, v[4:5], v[12:13]
	v_mov_b32_e32 v1, 1
	v_accvgpr_read_b32 v7, a11
	s_and_saveexec_b64 s[44:45], vcc
	s_cbranch_execz .LBB6_63
; %bb.54:                               ;   in Loop: Header=BB6_49 Depth=1
	s_mov_b64 s[46:47], 0
	v_mov_b32_e32 v1, 0
                                        ; implicit-def: $sgpr48_sgpr49
	s_branch .LBB6_58
.LBB6_55:                               ;   in Loop: Header=BB6_58 Depth=2
	s_or_b64 exec, exec, s[56:57]
	v_mov_b32_e32 v3, 0
	s_orn2_b64 s[54:55], s[54:55], exec
.LBB6_56:                               ;   in Loop: Header=BB6_58 Depth=2
	s_or_b64 exec, exec, s[52:53]
	s_andn2_b64 vcc, s[48:49], exec
	s_and_b64 s[48:49], s[54:55], exec
	s_or_b64 s[48:49], vcc, s[48:49]
	v_mov_b32_e32 v1, v3
.LBB6_57:                               ;   in Loop: Header=BB6_58 Depth=2
	s_or_b64 exec, exec, s[50:51]
	s_waitcnt vmcnt(0) lgkmcnt(0)
	v_add_co_u32_e32 v4, vcc, v36, v10
	v_addc_co_u32_e32 v5, vcc, 0, v37, vcc
	v_cmp_ge_u64_e32 vcc, v[4:5], v[12:13]
	s_xor_b64 s[50:51], s[48:49], -1
	s_or_b64 vcc, s[50:51], vcc
	s_and_b64 vcc, exec, vcc
	s_or_b64 s[46:47], vcc, s[46:47]
	s_andn2_b64 exec, exec, s[46:47]
	s_cbranch_execz .LBB6_62
.LBB6_58:                               ;   Parent Loop BB6_49 Depth=1
                                        ; =>  This Inner Loop Header: Depth=2
	s_sleep 1
	flat_load_dwordx2 v[36:37], v[32:33] glc
	v_and_b32_e32 v3, 64, v54
	v_cmp_eq_u32_e32 vcc, 0, v3
	s_andn2_b64 s[48:49], s[48:49], exec
	s_and_saveexec_b64 s[50:51], vcc
	s_cbranch_execz .LBB6_57
; %bb.59:                               ;   in Loop: Header=BB6_58 Depth=2
	v_add_u32_e32 v3, 1, v1
	v_cmp_lt_i32_e32 vcc, s64, v1
	s_mov_b64 s[54:55], -1
	s_and_saveexec_b64 s[52:53], vcc
	s_cbranch_execz .LBB6_56
; %bb.60:                               ;   in Loop: Header=BB6_58 Depth=2
	s_trap 2
	ds_read_b64 v[4:5], v0
	s_waitcnt vmcnt(0) lgkmcnt(0)
	flat_load_dword v1, v[4:5] glc
	s_waitcnt vmcnt(0) lgkmcnt(0)
	buffer_invl2
	buffer_wbinvl1_vol
	v_cmp_ne_u32_e32 vcc, 0, v1
	s_and_saveexec_b64 s[56:57], vcc
	s_cbranch_execz .LBB6_55
; %bb.61:                               ;   in Loop: Header=BB6_58 Depth=2
	v_or_b32_e32 v54, 64, v54
	s_xor_b64 s[54:55], exec, -1
	ds_write_b32 v0, v1
	s_trap 2
	s_branch .LBB6_55
.LBB6_62:                               ;   in Loop: Header=BB6_49 Depth=1
	s_or_b64 exec, exec, s[46:47]
	v_and_b32_e32 v1, 12, v54
.LBB6_63:                               ;   in Loop: Header=BB6_49 Depth=1
	s_or_b64 exec, exec, s[44:45]
	v_cmp_eq_u32_e32 vcc, 0, v1
	s_orn2_b64 s[44:45], vcc, exec
	;;#ASMSTART
	s_wakeup
	;;#ASMEND
.LBB6_64:                               ;   in Loop: Header=BB6_49 Depth=1
	s_or_b64 exec, exec, s[22:23]
	s_xor_b64 s[22:23], s[44:45], -1
	v_min_u32_e32 v28, v28, v46
	s_and_saveexec_b64 s[44:45], s[22:23]
	s_cbranch_execz .LBB6_78
; %bb.65:                               ;   in Loop: Header=BB6_49 Depth=1
	v_accvgpr_read_b32 v4, a10
	v_and_b32_e32 v1, 0x108, v54
	v_accvgpr_read_b32 v6, a12
	v_cmp_ne_u32_e32 vcc, s65, v1
	v_and_b32_e32 v10, 7, v6
	v_accvgpr_read_b32 v5, a11
	v_accvgpr_read_b32 v7, a13
	s_and_saveexec_b64 s[22:23], vcc
	s_xor_b64 s[22:23], exec, s[22:23]
                                        ; implicit-def: $vgpr12_vgpr13
; %bb.66:                               ;   in Loop: Header=BB6_49 Depth=1
	v_mov_b32_e32 v13, v40
; %bb.67:                               ;   in Loop: Header=BB6_49 Depth=1
	s_andn2_saveexec_b64 s[22:23], s[22:23]
	s_cbranch_execz .LBB6_69
; %bb.68:                               ;   in Loop: Header=BB6_49 Depth=1
	v_accvgpr_read_b32 v4, a10
	v_accvgpr_read_b32 v5, a11
	v_accvgpr_read_b32 v6, a12
	v_accvgpr_read_b32 v7, a13
	v_mov_b32_e32 v13, v40
	v_mad_u64_u32 v[4:5], vcc, v10, 24, v[4:5]
	v_lshlrev_b32_e32 v6, 1, v28
	v_mov_b32_e32 v7, v40
	flat_store_dwordx2 v[4:5], v[6:7] offset:8
.LBB6_69:                               ;   in Loop: Header=BB6_49 Depth=1
	s_or_b64 exec, exec, s[22:23]
	v_and_b32_e32 v1, 0x100, v54
	v_cmp_ne_u32_e32 vcc, 0, v1
	s_mov_b64 s[22:23], -1
                                        ; implicit-def: $vgpr14_vgpr15
	s_and_saveexec_b64 s[46:47], vcc
	s_cbranch_execz .LBB6_73
; %bb.70:                               ;   in Loop: Header=BB6_49 Depth=1
	v_accvgpr_read_b32 v4, a10
	v_accvgpr_read_b32 v5, a11
	v_mad_u64_u32 v[16:17], s[22:23], v10, 24, v[4:5]
	v_mov_b32_e32 v4, v17
	v_mad_u64_u32 v[4:5], s[22:23], v13, 24, v[4:5]
	v_mov_b32_e32 v17, v4
	flat_load_dword v1, v[16:17]
	v_accvgpr_read_b32 v6, a12
	v_accvgpr_read_b32 v7, a13
                                        ; implicit-def: $vgpr14_vgpr15
	s_waitcnt vmcnt(0) lgkmcnt(0)
	v_cmp_ne_u32_e32 vcc, 1, v1
	v_cmp_eq_u32_e64 s[22:23], 1, v1
	s_and_saveexec_b64 s[48:49], s[22:23]
	s_cbranch_execz .LBB6_72
; %bb.71:                               ;   in Loop: Header=BB6_49 Depth=1
	flat_load_dword v4, v[16:17] offset:4 glc
	s_waitcnt vmcnt(0) lgkmcnt(0)
	v_ashrrev_i32_e32 v5, 31, v4
	v_lshrrev_b64 v[14:15], 1, v[4:5]
.LBB6_72:                               ;   in Loop: Header=BB6_49 Depth=1
	s_or_b64 exec, exec, s[48:49]
	s_orn2_b64 s[22:23], vcc, exec
.LBB6_73:                               ;   in Loop: Header=BB6_49 Depth=1
	s_or_b64 exec, exec, s[46:47]
	s_and_saveexec_b64 vcc, s[22:23]
; %bb.74:                               ;   in Loop: Header=BB6_49 Depth=1
	v_accvgpr_read_b32 v4, a14
	v_mul_lo_u32 v1, v13, v4
	v_mul_lo_u32 v3, v10, v57
	v_mad_u64_u32 v[14:15], s[22:23], v10, v4, 0
	v_add3_u32 v15, v15, v3, v1
; %bb.75:                               ;   in Loop: Header=BB6_49 Depth=1
	s_or_b64 exec, exec, vcc
	v_lshlrev_b64 v[4:5], 1, v[14:15]
	v_add_co_u32_e32 v4, vcc, v34, v4
	v_addc_co_u32_e32 v5, vcc, v35, v5, vcc
	v_and_b32_e32 v1, 0x2000, v54
	v_cmp_ne_u32_e32 vcc, 0, v1
	s_trap 2
	ds_write_b64 v0, v[4:5]
	s_and_saveexec_b64 s[22:23], vcc
	s_cbranch_execz .LBB6_77
; %bb.76:                               ;   in Loop: Header=BB6_49 Depth=1
	ds_read_b64 v[4:5], v0 offset:584
	s_waitcnt lgkmcnt(0)
	v_add_co_u32_e32 v4, vcc, 1, v4
	v_addc_co_u32_e32 v5, vcc, 0, v5, vcc
	ds_write_b64 v0, v[4:5] offset:584
.LBB6_77:                               ;   in Loop: Header=BB6_49 Depth=1
	s_or_b64 exec, exec, s[22:23]
	v_accvgpr_read_b32 v4, a10
	v_accvgpr_read_b32 v6, a12
	;; [unrolled: 1-line block ×3, first 2 shown]
	v_add_co_u32_e32 v6, vcc, 1, v6
	v_addc_co_u32_e32 v7, vcc, 0, v7, vcc
	v_accvgpr_read_b32 v5, a11
	v_accvgpr_write_b32 a13, v7
	v_accvgpr_write_b32 a12, v6
	;; [unrolled: 1-line block ×4, first 2 shown]
.LBB6_78:                               ;   in Loop: Header=BB6_49 Depth=1
	s_or_b64 exec, exec, s[44:45]
	s_and_saveexec_b64 s[22:23], s[12:13]
	s_cbranch_execz .LBB6_97
; %bb.79:                               ;   in Loop: Header=BB6_49 Depth=1
	s_and_saveexec_b64 vcc, s[34:35]
	s_xor_b64 s[44:45], exec, vcc
	s_cbranch_execz .LBB6_94
; %bb.80:                               ;   in Loop: Header=BB6_49 Depth=1
	s_and_saveexec_b64 s[46:47], s[14:15]
	s_cbranch_execz .LBB6_93
; %bb.81:                               ;   in Loop: Header=BB6_49 Depth=1
	s_mov_b64 s[50:51], exec
	v_mbcnt_lo_u32_b32 v1, s50, 0
	v_mbcnt_hi_u32_b32 v1, s51, v1
	v_cmp_eq_u32_e32 vcc, 0, v1
	s_waitcnt vmcnt(0) lgkmcnt(0)
	buffer_wbinvl1_vol
	s_and_saveexec_b64 s[48:49], vcc
	s_cbranch_execz .LBB6_83
; %bb.82:                               ;   in Loop: Header=BB6_49 Depth=1
	s_bcnt1_i32_b64 vcc_lo, s[50:51]
	v_mov_b32_e32 v4, vcc_lo
	v_mov_b32_e32 v5, v40
	ds_add_u64 v0, v[4:5]
	s_trap 2
.LBB6_83:                               ;   in Loop: Header=BB6_49 Depth=1
	s_or_b64 exec, exec, s[48:49]
	s_trap 2
	ds_read_b64 v[4:5], v0
	v_add_co_u32_e32 v38, vcc, v38, v30
	v_addc_co_u32_e32 v39, vcc, 0, v39, vcc
	s_waitcnt lgkmcnt(0)
	v_cmp_lt_u64_e32 vcc, v[4:5], v[38:39]
	s_and_saveexec_b64 s[48:49], vcc
	s_cbranch_execz .LBB6_92
; %bb.84:                               ;   in Loop: Header=BB6_49 Depth=1
	s_mov_b32 s60, 0
	s_mov_b64 s[50:51], 0
                                        ; implicit-def: $sgpr52_sgpr53
                                        ; implicit-def: $sgpr54_sgpr55
	s_branch .LBB6_86
.LBB6_85:                               ;   in Loop: Header=BB6_86 Depth=2
	s_or_b64 exec, exec, s[58:59]
	s_and_b64 vcc, exec, vcc
	s_or_b64 s[50:51], vcc, s[50:51]
	s_andn2_b64 vcc, s[52:53], exec
	s_and_b64 s[52:53], s[54:55], exec
	s_or_b64 s[52:53], vcc, s[52:53]
	s_andn2_b64 exec, exec, s[50:51]
	s_cbranch_execz .LBB6_90
.LBB6_86:                               ;   Parent Loop BB6_49 Depth=1
                                        ; =>  This Inner Loop Header: Depth=2
	s_add_i32 s60, s60, 1
	s_cmpk_lg_i32 s60, 0x2710
	s_cselect_b64 s[56:57], -1, 0
	s_and_b64 vcc, exec, s[56:57]
                                        ; implicit-def: $sgpr58_sgpr59
	s_cbranch_vccnz .LBB6_88
; %bb.87:                               ;   in Loop: Header=BB6_86 Depth=2
	s_trap 2
	ds_read_b64 v[4:5], v0
	s_andn2_b64 s[56:57], s[56:57], exec
	s_mov_b32 s60, 0
	s_mov_b64 s[58:59], -1
	s_waitcnt lgkmcnt(0)
	flat_load_dword v1, v[4:5] glc
	s_waitcnt vmcnt(0) lgkmcnt(0)
	buffer_invl2
	buffer_wbinvl1_vol
	v_cmp_eq_u32_e32 vcc, 0, v1
	s_and_b64 vcc, vcc, exec
	s_or_b64 s[56:57], s[56:57], vcc
.LBB6_88:                               ;   in Loop: Header=BB6_86 Depth=2
	s_andn2_b64 s[54:55], s[54:55], exec
	s_and_b64 s[58:59], s[58:59], exec
	s_mov_b64 vcc, -1
	s_or_b64 s[54:55], s[54:55], s[58:59]
	s_and_saveexec_b64 s[58:59], s[56:57]
	s_cbranch_execz .LBB6_85
; %bb.89:                               ;   in Loop: Header=BB6_86 Depth=2
	s_sleep 1
	s_trap 2
	ds_read_b64 v[4:5], v0
	s_andn2_b64 s[54:55], s[54:55], exec
	s_waitcnt lgkmcnt(0)
	v_cmp_ge_u64_e32 vcc, v[4:5], v[38:39]
	s_orn2_b64 vcc, vcc, exec
	s_branch .LBB6_85
.LBB6_90:                               ;   in Loop: Header=BB6_49 Depth=1
	s_or_b64 exec, exec, s[50:51]
	s_and_saveexec_b64 vcc, s[52:53]
	s_xor_b64 vcc, exec, vcc
	s_cbranch_execz .LBB6_92
; %bb.91:                               ;   in Loop: Header=BB6_49 Depth=1
	ds_write_b32 v0, v21
	s_trap 2
.LBB6_92:                               ;   in Loop: Header=BB6_49 Depth=1
	s_or_b64 exec, exec, s[48:49]
	;;#ASMSTART
	s_wakeup
	;;#ASMEND
.LBB6_93:                               ;   in Loop: Header=BB6_49 Depth=1
	s_or_b64 exec, exec, s[46:47]
.LBB6_94:                               ;   in Loop: Header=BB6_49 Depth=1
	s_andn2_saveexec_b64 vcc, s[44:45]
	s_cbranch_execz .LBB6_96
; %bb.95:                               ;   in Loop: Header=BB6_49 Depth=1
	s_waitcnt vmcnt(0) lgkmcnt(0)
	buffer_wbinvl1_vol
	s_barrier
.LBB6_96:                               ;   in Loop: Header=BB6_49 Depth=1
	s_or_b64 exec, exec, vcc
.LBB6_97:                               ;   in Loop: Header=BB6_49 Depth=1
	s_or_b64 exec, exec, s[22:23]
	s_trap 2
	ds_read_b32 v1, v0
	v_and_b32_e32 v3, 0x4000, v54
	v_cmp_ne_u32_e32 vcc, 0, v3
	s_and_b64 vcc, s[38:39], vcc
	s_and_saveexec_b64 s[22:23], vcc
	s_cbranch_execz .LBB6_116
; %bb.98:                               ;   in Loop: Header=BB6_49 Depth=1
	s_and_saveexec_b64 vcc, s[34:35]
	s_xor_b64 s[44:45], exec, vcc
	s_cbranch_execz .LBB6_113
; %bb.99:                               ;   in Loop: Header=BB6_49 Depth=1
	s_and_saveexec_b64 s[46:47], s[14:15]
	s_cbranch_execz .LBB6_112
; %bb.100:                              ;   in Loop: Header=BB6_49 Depth=1
	s_mov_b64 s[50:51], exec
	v_mbcnt_lo_u32_b32 v3, s50, 0
	v_mbcnt_hi_u32_b32 v3, s51, v3
	v_cmp_eq_u32_e32 vcc, 0, v3
	s_waitcnt vmcnt(0) lgkmcnt(0)
	buffer_wbinvl1_vol
	s_and_saveexec_b64 s[48:49], vcc
	s_cbranch_execz .LBB6_102
; %bb.101:                              ;   in Loop: Header=BB6_49 Depth=1
	s_bcnt1_i32_b64 vcc_lo, s[50:51]
	v_mov_b32_e32 v4, vcc_lo
	v_mov_b32_e32 v5, v40
	ds_add_u64 v0, v[4:5]
	s_trap 2
.LBB6_102:                              ;   in Loop: Header=BB6_49 Depth=1
	s_or_b64 exec, exec, s[48:49]
	s_trap 2
	ds_read_b64 v[4:5], v0
	v_add_co_u32_e32 v38, vcc, v38, v30
	v_addc_co_u32_e32 v39, vcc, 0, v39, vcc
	s_waitcnt lgkmcnt(0)
	v_cmp_lt_u64_e32 vcc, v[4:5], v[38:39]
	s_and_saveexec_b64 s[48:49], vcc
	s_cbranch_execz .LBB6_111
; %bb.103:                              ;   in Loop: Header=BB6_49 Depth=1
	s_mov_b32 s60, 0
	s_mov_b64 s[50:51], 0
                                        ; implicit-def: $sgpr52_sgpr53
                                        ; implicit-def: $sgpr54_sgpr55
	s_branch .LBB6_105
.LBB6_104:                              ;   in Loop: Header=BB6_105 Depth=2
	s_or_b64 exec, exec, s[58:59]
	s_and_b64 vcc, exec, vcc
	s_or_b64 s[50:51], vcc, s[50:51]
	s_andn2_b64 vcc, s[52:53], exec
	s_and_b64 s[52:53], s[54:55], exec
	s_or_b64 s[52:53], vcc, s[52:53]
	s_andn2_b64 exec, exec, s[50:51]
	s_cbranch_execz .LBB6_109
.LBB6_105:                              ;   Parent Loop BB6_49 Depth=1
                                        ; =>  This Inner Loop Header: Depth=2
	s_add_i32 s60, s60, 1
	s_cmpk_lg_i32 s60, 0x2710
	s_cselect_b64 s[56:57], -1, 0
	s_and_b64 vcc, exec, s[56:57]
                                        ; implicit-def: $sgpr58_sgpr59
	s_cbranch_vccnz .LBB6_107
; %bb.106:                              ;   in Loop: Header=BB6_105 Depth=2
	s_trap 2
	ds_read_b64 v[4:5], v0
	s_andn2_b64 s[56:57], s[56:57], exec
	s_mov_b32 s60, 0
	s_mov_b64 s[58:59], -1
	s_waitcnt lgkmcnt(0)
	flat_load_dword v3, v[4:5] glc
	s_waitcnt vmcnt(0) lgkmcnt(0)
	buffer_invl2
	buffer_wbinvl1_vol
	v_cmp_eq_u32_e32 vcc, 0, v3
	s_and_b64 vcc, vcc, exec
	s_or_b64 s[56:57], s[56:57], vcc
.LBB6_107:                              ;   in Loop: Header=BB6_105 Depth=2
	s_andn2_b64 s[54:55], s[54:55], exec
	s_and_b64 s[58:59], s[58:59], exec
	s_mov_b64 vcc, -1
	s_or_b64 s[54:55], s[54:55], s[58:59]
	s_and_saveexec_b64 s[58:59], s[56:57]
	s_cbranch_execz .LBB6_104
; %bb.108:                              ;   in Loop: Header=BB6_105 Depth=2
	s_sleep 1
	s_trap 2
	ds_read_b64 v[4:5], v0
	s_andn2_b64 s[54:55], s[54:55], exec
	s_waitcnt lgkmcnt(0)
	v_cmp_ge_u64_e32 vcc, v[4:5], v[38:39]
	s_orn2_b64 vcc, vcc, exec
	s_branch .LBB6_104
.LBB6_109:                              ;   in Loop: Header=BB6_49 Depth=1
	s_or_b64 exec, exec, s[50:51]
	s_and_saveexec_b64 vcc, s[52:53]
	s_xor_b64 vcc, exec, vcc
	s_cbranch_execz .LBB6_111
; %bb.110:                              ;   in Loop: Header=BB6_49 Depth=1
	ds_write_b32 v0, v21
	s_trap 2
.LBB6_111:                              ;   in Loop: Header=BB6_49 Depth=1
	s_or_b64 exec, exec, s[48:49]
	;;#ASMSTART
	s_wakeup
	;;#ASMEND
.LBB6_112:                              ;   in Loop: Header=BB6_49 Depth=1
	s_or_b64 exec, exec, s[46:47]
.LBB6_113:                              ;   in Loop: Header=BB6_49 Depth=1
	s_andn2_saveexec_b64 vcc, s[44:45]
	s_cbranch_execz .LBB6_115
; %bb.114:                              ;   in Loop: Header=BB6_49 Depth=1
	s_waitcnt vmcnt(0) lgkmcnt(0)
	buffer_wbinvl1_vol
	s_barrier
.LBB6_115:                              ;   in Loop: Header=BB6_49 Depth=1
	s_or_b64 exec, exec, vcc
.LBB6_116:                              ;   in Loop: Header=BB6_49 Depth=1
	s_or_b64 exec, exec, s[22:23]
	s_trap 2
	ds_read_b64 v[4:5], v0
	s_waitcnt lgkmcnt(0)
	v_readfirstlane_b32 s22, v4
	v_readfirstlane_b32 s23, v5
	s_cmp_eq_u64 s[22:23], 0
	s_cselect_b64 s[22:23], -1, 0
	s_or_b64 vcc, s[22:23], s[22:23]
	s_mov_b64 s[22:23], 0
	s_and_b64 vcc, exec, vcc
	s_cbranch_vccnz .LBB6_261
; %bb.117:                              ;   in Loop: Header=BB6_49 Depth=1
	s_mov_b64 s[22:23], -1
	s_and_saveexec_b64 s[44:45], s[16:17]
	s_cbranch_execz .LBB6_119
; %bb.118:                              ;   in Loop: Header=BB6_49 Depth=1
	ds_read_b32 v3, v0 offset:720
	s_waitcnt lgkmcnt(0)
	v_and_b32_e32 v3, 15, v3
	v_cmp_eq_u32_e32 vcc, 0, v3
	s_orn2_b64 s[22:23], vcc, exec
.LBB6_119:                              ;   in Loop: Header=BB6_49 Depth=1
	s_or_b64 exec, exec, s[44:45]
	s_and_saveexec_b64 s[44:45], s[18:19]
	s_cbranch_execz .LBB6_121
; %bb.120:                              ;   in Loop: Header=BB6_49 Depth=1
	ds_read_b32 v3, v0 offset:784
	s_waitcnt lgkmcnt(0)
	v_and_b32_e32 v3, 15, v3
	v_cmp_eq_u32_e32 vcc, 0, v3
	s_and_b64 vcc, s[22:23], vcc
	s_andn2_b64 s[22:23], s[22:23], exec
	s_and_b64 vcc, vcc, exec
	s_or_b64 s[22:23], s[22:23], vcc
.LBB6_121:                              ;   in Loop: Header=BB6_49 Depth=1
	s_or_b64 exec, exec, s[44:45]
	v_cmp_eq_u32_e32 vcc, 0, v1
	s_xor_b64 s[22:23], s[22:23], -1
	v_cndmask_b32_e32 v29, 0, v28, vcc
	v_cndmask_b32_e64 v1, 0, 1, s[22:23]
	v_mov_b32_e32 v3, 0
	v_lshlrev_b32_e32 v41, 1, v29
	s_mov_b64 s[46:47], -1
	;;#ASMSTART
	;;#ASMEND
	v_cmp_ne_u32_e32 vcc, 0, v1
	s_cbranch_vccz .LBB6_123
; %bb.122:                              ;   in Loop: Header=BB6_49 Depth=1
	v_mov_b32_e32 v18, v0
	v_mov_b32_e32 v10, v58
	s_and_saveexec_b64 s[22:23], s[46:47]
	s_cbranch_execnz .LBB6_232
	s_branch .LBB6_260
.LBB6_123:                              ;   in Loop: Header=BB6_49 Depth=1
	v_lshrrev_b32_e32 v52, 10, v29
	v_sub_u32_e32 v47, v52, v58
	v_cmp_lt_i32_e32 vcc, 0, v47
	s_and_saveexec_b64 s[22:23], vcc
	s_cbranch_execz .LBB6_191
; %bb.124:                              ;   in Loop: Header=BB6_49 Depth=1
	s_trap 2
	ds_read_b128 v[4:7], v0
	ds_read_b64 v[8:9], v0
	v_accvgpr_read_b32 v10, a20
	v_accvgpr_read_b32 v1, a19
	v_accvgpr_write_b32 a3, v57
	s_waitcnt lgkmcnt(0)
	v_add_co_u32_e32 v56, vcc, v4, v10
	v_addc_co_u32_e32 v57, vcc, v5, v1, vcc
	v_accvgpr_write_b32 a18, v58
	v_add_co_u32_e32 v58, vcc, v6, v10
	v_accvgpr_write_b32 a21, v59
	v_accvgpr_write_b32 a8, v60
	v_addc_co_u32_e32 v59, vcc, v7, v1, vcc
	v_accvgpr_write_b32 a9, v61
	v_add_co_u32_e32 v60, vcc, v8, v10
	v_addc_co_u32_e32 v61, vcc, v9, v1, vcc
	s_mov_b64 s[44:45], 0
	s_branch .LBB6_126
.LBB6_125:                              ;   in Loop: Header=BB6_126 Depth=2
	s_or_b64 exec, exec, s[46:47]
	v_lshrrev_b32_e32 v4, 16, v53
	v_lshrrev_b32_e32 v1, 16, v1
	v_and_or_b32 v5, v23, s68, v4
	v_and_or_b32 v4, v22, s68, v1
	v_lshrrev_b32_e32 v1, 16, v42
	v_and_or_b32 v6, v20, s68, v1
	v_lshrrev_b32_e32 v1, 16, v24
	v_add_co_u32_e32 v56, vcc, v56, v27
	v_and_or_b32 v7, v21, s68, v1
	v_lshrrev_b32_e32 v1, 16, v18
	v_addc_co_u32_e32 v57, vcc, v57, v55, vcc
	v_and_or_b32 v9, v15, s68, v1
	v_lshrrev_b32_e32 v1, 16, v25
	v_add_co_u32_e32 v58, vcc, v58, v27
	v_and_or_b32 v8, v14, s68, v1
	v_lshrrev_b32_e32 v1, 16, v19
	v_addc_co_u32_e32 v59, vcc, v59, v55, vcc
	v_sub_u32_e32 v47, v47, v30
	v_and_or_b32 v10, v12, s68, v1
	v_lshrrev_b32_e32 v1, 16, v16
	v_cmp_gt_i32_e32 vcc, 1, v47
	v_and_or_b32 v11, v3, s68, v1
	global_store_dwordx4 v[60:61], v[4:7], off glc slc
	global_store_dwordx4 v[60:61], v[8:11], off offset:1024 glc slc
	s_or_b64 s[44:45], vcc, s[44:45]
	v_add_co_u32_e32 v60, vcc, v60, v27
	v_addc_co_u32_e32 v61, vcc, v61, v55, vcc
	s_andn2_b64 exec, exec, s[44:45]
	s_cbranch_execz .LBB6_190
.LBB6_126:                              ;   Parent Loop BB6_49 Depth=1
                                        ; =>  This Inner Loop Header: Depth=2
	global_load_dwordx4 v[18:21], v[58:59], off glc slc
	global_load_dwordx4 v[22:25], v[56:57], off glc slc
	global_load_dwordx4 v[14:17], v[56:57], off offset:1024 glc slc
	global_load_dwordx4 v[10:13], v[58:59], off offset:1024 glc slc
	s_waitcnt vmcnt(0)
	v_lshlrev_b32_e32 v4, 16, v18
	v_lshlrev_b32_e32 v6, 16, v22
	v_pk_add_f32 v[42:43], v[4:5], v[6:7] op_sel_hi:[0,1]
	v_and_b32_e32 v1, 0x7f800000, v42
	v_cmp_ne_u32_e32 vcc, s66, v1
                                        ; implicit-def: $vgpr1
	s_and_saveexec_b64 s[46:47], vcc
	s_xor_b64 vcc, exec, s[46:47]
; %bb.127:                              ;   in Loop: Header=BB6_126 Depth=2
	v_bfe_u32 v1, v42, 16, 1
	v_add3_u32 v1, v42, v1, s67
                                        ; implicit-def: $vgpr42_vgpr43
; %bb.128:                              ;   in Loop: Header=BB6_126 Depth=2
	s_andn2_saveexec_b64 s[46:47], vcc
; %bb.129:                              ;   in Loop: Header=BB6_126 Depth=2
	v_or_b32_e32 v1, 0x10000, v42
	v_cmp_eq_u32_sdwa vcc, v42, v40 src0_sel:WORD_0 src1_sel:DWORD
	v_cndmask_b32_e32 v1, v1, v42, vcc
; %bb.130:                              ;   in Loop: Header=BB6_126 Depth=2
	s_or_b64 exec, exec, s[46:47]
	v_and_b32_e32 v4, 0xffff0000, v18
	v_and_b32_e32 v6, 0xffff0000, v22
	v_pk_add_f32 v[42:43], v[4:5], v[6:7] op_sel_hi:[0,1]
	v_and_b32_e32 v3, 0x7f800000, v42
	v_cmp_ne_u32_e32 vcc, s66, v3
                                        ; implicit-def: $vgpr22
	s_and_saveexec_b64 s[46:47], vcc
	s_xor_b64 vcc, exec, s[46:47]
; %bb.131:                              ;   in Loop: Header=BB6_126 Depth=2
	v_bfe_u32 v3, v42, 16, 1
	v_add3_u32 v22, v42, v3, s67
                                        ; implicit-def: $vgpr42_vgpr43
; %bb.132:                              ;   in Loop: Header=BB6_126 Depth=2
	s_andn2_saveexec_b64 s[46:47], vcc
; %bb.133:                              ;   in Loop: Header=BB6_126 Depth=2
	v_or_b32_e32 v3, 0x10000, v42
	v_cmp_eq_u32_sdwa vcc, v42, v40 src0_sel:WORD_0 src1_sel:DWORD
	v_cndmask_b32_e32 v22, v3, v42, vcc
; %bb.134:                              ;   in Loop: Header=BB6_126 Depth=2
	s_or_b64 exec, exec, s[46:47]
	v_mov_b32_e32 v3, v19
	v_lshlrev_b32_e32 v4, 16, v3
	v_lshlrev_b32_e32 v6, 16, v23
	v_pk_add_f32 v[18:19], v[4:5], v[6:7] op_sel_hi:[0,1]
	v_and_b32_e32 v4, 0x7f800000, v18
	v_cmp_ne_u32_e32 vcc, s66, v4
                                        ; implicit-def: $vgpr53
	s_and_saveexec_b64 s[46:47], vcc
	s_xor_b64 vcc, exec, s[46:47]
; %bb.135:                              ;   in Loop: Header=BB6_126 Depth=2
	v_bfe_u32 v4, v18, 16, 1
	v_add3_u32 v53, v18, v4, s67
                                        ; implicit-def: $vgpr18_vgpr19
; %bb.136:                              ;   in Loop: Header=BB6_126 Depth=2
	s_andn2_saveexec_b64 s[46:47], vcc
; %bb.137:                              ;   in Loop: Header=BB6_126 Depth=2
	v_or_b32_e32 v4, 0x10000, v18
	v_cmp_eq_u32_sdwa vcc, v18, v40 src0_sel:WORD_0 src1_sel:DWORD
	v_cndmask_b32_e32 v53, v4, v18, vcc
; %bb.138:                              ;   in Loop: Header=BB6_126 Depth=2
	s_or_b64 exec, exec, s[46:47]
	v_and_b32_e32 v4, 0xffff0000, v3
	v_and_b32_e32 v6, 0xffff0000, v23
	v_pk_add_f32 v[18:19], v[4:5], v[6:7] op_sel_hi:[0,1]
	v_and_b32_e32 v3, 0x7f800000, v18
	v_cmp_ne_u32_e32 vcc, s66, v3
                                        ; implicit-def: $vgpr23
	s_and_saveexec_b64 s[46:47], vcc
	s_xor_b64 vcc, exec, s[46:47]
; %bb.139:                              ;   in Loop: Header=BB6_126 Depth=2
	v_bfe_u32 v3, v18, 16, 1
	v_add3_u32 v23, v18, v3, s67
                                        ; implicit-def: $vgpr18_vgpr19
; %bb.140:                              ;   in Loop: Header=BB6_126 Depth=2
	s_andn2_saveexec_b64 s[46:47], vcc
; %bb.141:                              ;   in Loop: Header=BB6_126 Depth=2
	v_or_b32_e32 v3, 0x10000, v18
	v_cmp_eq_u32_sdwa vcc, v18, v40 src0_sel:WORD_0 src1_sel:DWORD
	v_cndmask_b32_e32 v23, v3, v18, vcc
; %bb.142:                              ;   in Loop: Header=BB6_126 Depth=2
	s_or_b64 exec, exec, s[46:47]
	v_lshlrev_b32_e32 v4, 16, v20
	v_lshlrev_b32_e32 v6, 16, v24
	v_pk_add_f32 v[18:19], v[4:5], v[6:7] op_sel_hi:[0,1]
	v_and_b32_e32 v3, 0x7f800000, v18
	v_cmp_ne_u32_e32 vcc, s66, v3
                                        ; implicit-def: $vgpr42
	s_and_saveexec_b64 s[46:47], vcc
	s_xor_b64 vcc, exec, s[46:47]
; %bb.143:                              ;   in Loop: Header=BB6_126 Depth=2
	v_bfe_u32 v3, v18, 16, 1
	v_add3_u32 v42, v18, v3, s67
                                        ; implicit-def: $vgpr18_vgpr19
; %bb.144:                              ;   in Loop: Header=BB6_126 Depth=2
	s_andn2_saveexec_b64 s[46:47], vcc
; %bb.145:                              ;   in Loop: Header=BB6_126 Depth=2
	v_or_b32_e32 v3, 0x10000, v18
	v_cmp_eq_u32_sdwa vcc, v18, v40 src0_sel:WORD_0 src1_sel:DWORD
	v_cndmask_b32_e32 v42, v3, v18, vcc
; %bb.146:                              ;   in Loop: Header=BB6_126 Depth=2
	s_or_b64 exec, exec, s[46:47]
	v_and_b32_e32 v4, 0xffff0000, v20
	v_and_b32_e32 v6, 0xffff0000, v24
	v_pk_add_f32 v[18:19], v[4:5], v[6:7] op_sel_hi:[0,1]
	v_and_b32_e32 v3, 0x7f800000, v18
	v_cmp_ne_u32_e32 vcc, s66, v3
                                        ; implicit-def: $vgpr20
	s_and_saveexec_b64 s[46:47], vcc
	s_xor_b64 vcc, exec, s[46:47]
; %bb.147:                              ;   in Loop: Header=BB6_126 Depth=2
	v_bfe_u32 v3, v18, 16, 1
	v_add3_u32 v20, v18, v3, s67
                                        ; implicit-def: $vgpr18_vgpr19
; %bb.148:                              ;   in Loop: Header=BB6_126 Depth=2
	s_andn2_saveexec_b64 s[46:47], vcc
; %bb.149:                              ;   in Loop: Header=BB6_126 Depth=2
	v_or_b32_e32 v3, 0x10000, v18
	v_cmp_eq_u32_sdwa vcc, v18, v40 src0_sel:WORD_0 src1_sel:DWORD
	v_cndmask_b32_e32 v20, v3, v18, vcc
; %bb.150:                              ;   in Loop: Header=BB6_126 Depth=2
	s_or_b64 exec, exec, s[46:47]
	v_mov_b32_e32 v3, v25
	v_lshlrev_b32_e32 v4, 16, v21
	v_lshlrev_b32_e32 v6, 16, v3
	v_pk_add_f32 v[18:19], v[4:5], v[6:7] op_sel_hi:[0,1]
	v_and_b32_e32 v4, 0x7f800000, v18
	v_cmp_ne_u32_e32 vcc, s66, v4
                                        ; implicit-def: $vgpr24
	s_and_saveexec_b64 s[46:47], vcc
	s_xor_b64 vcc, exec, s[46:47]
; %bb.151:                              ;   in Loop: Header=BB6_126 Depth=2
	v_bfe_u32 v4, v18, 16, 1
	v_add3_u32 v24, v18, v4, s67
                                        ; implicit-def: $vgpr18_vgpr19
; %bb.152:                              ;   in Loop: Header=BB6_126 Depth=2
	s_andn2_saveexec_b64 s[46:47], vcc
; %bb.153:                              ;   in Loop: Header=BB6_126 Depth=2
	v_or_b32_e32 v4, 0x10000, v18
	v_cmp_eq_u32_sdwa vcc, v18, v40 src0_sel:WORD_0 src1_sel:DWORD
	v_cndmask_b32_e32 v24, v4, v18, vcc
; %bb.154:                              ;   in Loop: Header=BB6_126 Depth=2
	s_or_b64 exec, exec, s[46:47]
	v_and_b32_e32 v4, 0xffff0000, v21
	v_and_b32_e32 v6, 0xffff0000, v3
	v_pk_add_f32 v[18:19], v[4:5], v[6:7] op_sel_hi:[0,1]
	v_and_b32_e32 v3, 0x7f800000, v18
	v_cmp_ne_u32_e32 vcc, s66, v3
                                        ; implicit-def: $vgpr21
	s_and_saveexec_b64 s[46:47], vcc
	s_xor_b64 vcc, exec, s[46:47]
; %bb.155:                              ;   in Loop: Header=BB6_126 Depth=2
	v_bfe_u32 v3, v18, 16, 1
	v_add3_u32 v21, v18, v3, s67
                                        ; implicit-def: $vgpr18_vgpr19
; %bb.156:                              ;   in Loop: Header=BB6_126 Depth=2
	s_andn2_saveexec_b64 s[46:47], vcc
; %bb.157:                              ;   in Loop: Header=BB6_126 Depth=2
	v_or_b32_e32 v3, 0x10000, v18
	v_cmp_eq_u32_sdwa vcc, v18, v40 src0_sel:WORD_0 src1_sel:DWORD
	v_cndmask_b32_e32 v21, v3, v18, vcc
; %bb.158:                              ;   in Loop: Header=BB6_126 Depth=2
	s_or_b64 exec, exec, s[46:47]
	v_lshlrev_b32_e32 v4, 16, v10
	v_lshlrev_b32_e32 v6, 16, v14
	v_pk_add_f32 v[18:19], v[4:5], v[6:7] op_sel_hi:[0,1]
	v_and_b32_e32 v3, 0x7f800000, v18
	v_cmp_ne_u32_e32 vcc, s66, v3
                                        ; implicit-def: $vgpr25
	s_and_saveexec_b64 s[46:47], vcc
	s_xor_b64 vcc, exec, s[46:47]
; %bb.159:                              ;   in Loop: Header=BB6_126 Depth=2
	v_bfe_u32 v3, v18, 16, 1
	v_add3_u32 v25, v18, v3, s67
                                        ; implicit-def: $vgpr18_vgpr19
; %bb.160:                              ;   in Loop: Header=BB6_126 Depth=2
	s_andn2_saveexec_b64 s[46:47], vcc
; %bb.161:                              ;   in Loop: Header=BB6_126 Depth=2
	v_or_b32_e32 v3, 0x10000, v18
	v_cmp_eq_u32_sdwa vcc, v18, v40 src0_sel:WORD_0 src1_sel:DWORD
	v_cndmask_b32_e32 v25, v3, v18, vcc
; %bb.162:                              ;   in Loop: Header=BB6_126 Depth=2
	s_or_b64 exec, exec, s[46:47]
	v_and_b32_e32 v4, 0xffff0000, v10
	v_and_b32_e32 v6, 0xffff0000, v14
	v_pk_add_f32 v[18:19], v[4:5], v[6:7] op_sel_hi:[0,1]
	v_and_b32_e32 v3, 0x7f800000, v18
	v_cmp_ne_u32_e32 vcc, s66, v3
                                        ; implicit-def: $vgpr14
	s_and_saveexec_b64 s[46:47], vcc
	s_xor_b64 vcc, exec, s[46:47]
; %bb.163:                              ;   in Loop: Header=BB6_126 Depth=2
	v_bfe_u32 v3, v18, 16, 1
	v_add3_u32 v14, v18, v3, s67
                                        ; implicit-def: $vgpr18_vgpr19
; %bb.164:                              ;   in Loop: Header=BB6_126 Depth=2
	s_andn2_saveexec_b64 s[46:47], vcc
; %bb.165:                              ;   in Loop: Header=BB6_126 Depth=2
	v_or_b32_e32 v3, 0x10000, v18
	v_cmp_eq_u32_sdwa vcc, v18, v40 src0_sel:WORD_0 src1_sel:DWORD
	v_cndmask_b32_e32 v14, v3, v18, vcc
; %bb.166:                              ;   in Loop: Header=BB6_126 Depth=2
	s_or_b64 exec, exec, s[46:47]
	v_mov_b32_e32 v3, v11
	v_lshlrev_b32_e32 v4, 16, v3
	v_lshlrev_b32_e32 v6, 16, v15
	v_pk_add_f32 v[10:11], v[4:5], v[6:7] op_sel_hi:[0,1]
	v_and_b32_e32 v4, 0x7f800000, v10
	v_cmp_ne_u32_e32 vcc, s66, v4
                                        ; implicit-def: $vgpr18
	s_and_saveexec_b64 s[46:47], vcc
	s_xor_b64 vcc, exec, s[46:47]
; %bb.167:                              ;   in Loop: Header=BB6_126 Depth=2
	v_bfe_u32 v4, v10, 16, 1
	v_add3_u32 v18, v10, v4, s67
                                        ; implicit-def: $vgpr10_vgpr11
; %bb.168:                              ;   in Loop: Header=BB6_126 Depth=2
	s_andn2_saveexec_b64 s[46:47], vcc
; %bb.169:                              ;   in Loop: Header=BB6_126 Depth=2
	v_or_b32_e32 v4, 0x10000, v10
	v_cmp_eq_u32_sdwa vcc, v10, v40 src0_sel:WORD_0 src1_sel:DWORD
	v_cndmask_b32_e32 v18, v4, v10, vcc
; %bb.170:                              ;   in Loop: Header=BB6_126 Depth=2
	s_or_b64 exec, exec, s[46:47]
	v_and_b32_e32 v4, 0xffff0000, v3
	v_and_b32_e32 v6, 0xffff0000, v15
	v_pk_add_f32 v[10:11], v[4:5], v[6:7] op_sel_hi:[0,1]
	v_and_b32_e32 v3, 0x7f800000, v10
	v_cmp_ne_u32_e32 vcc, s66, v3
                                        ; implicit-def: $vgpr15
	s_and_saveexec_b64 s[46:47], vcc
	s_xor_b64 vcc, exec, s[46:47]
; %bb.171:                              ;   in Loop: Header=BB6_126 Depth=2
	v_bfe_u32 v3, v10, 16, 1
	v_add3_u32 v15, v10, v3, s67
                                        ; implicit-def: $vgpr10_vgpr11
; %bb.172:                              ;   in Loop: Header=BB6_126 Depth=2
	s_andn2_saveexec_b64 s[46:47], vcc
; %bb.173:                              ;   in Loop: Header=BB6_126 Depth=2
	v_or_b32_e32 v3, 0x10000, v10
	v_cmp_eq_u32_sdwa vcc, v10, v40 src0_sel:WORD_0 src1_sel:DWORD
	v_cndmask_b32_e32 v15, v3, v10, vcc
; %bb.174:                              ;   in Loop: Header=BB6_126 Depth=2
	s_or_b64 exec, exec, s[46:47]
	v_lshlrev_b32_e32 v4, 16, v12
	v_lshlrev_b32_e32 v6, 16, v16
	v_pk_add_f32 v[10:11], v[4:5], v[6:7] op_sel_hi:[0,1]
	v_and_b32_e32 v3, 0x7f800000, v10
	v_cmp_ne_u32_e32 vcc, s66, v3
                                        ; implicit-def: $vgpr19
	s_and_saveexec_b64 s[46:47], vcc
	s_xor_b64 vcc, exec, s[46:47]
; %bb.175:                              ;   in Loop: Header=BB6_126 Depth=2
	v_bfe_u32 v3, v10, 16, 1
	v_add3_u32 v19, v10, v3, s67
                                        ; implicit-def: $vgpr10_vgpr11
; %bb.176:                              ;   in Loop: Header=BB6_126 Depth=2
	s_andn2_saveexec_b64 s[46:47], vcc
; %bb.177:                              ;   in Loop: Header=BB6_126 Depth=2
	v_or_b32_e32 v3, 0x10000, v10
	v_cmp_eq_u32_sdwa vcc, v10, v40 src0_sel:WORD_0 src1_sel:DWORD
	v_cndmask_b32_e32 v19, v3, v10, vcc
; %bb.178:                              ;   in Loop: Header=BB6_126 Depth=2
	s_or_b64 exec, exec, s[46:47]
	v_and_b32_e32 v4, 0xffff0000, v12
	v_and_b32_e32 v6, 0xffff0000, v16
	v_pk_add_f32 v[10:11], v[4:5], v[6:7] op_sel_hi:[0,1]
	v_and_b32_e32 v3, 0x7f800000, v10
	v_cmp_ne_u32_e32 vcc, s66, v3
                                        ; implicit-def: $vgpr12
	s_and_saveexec_b64 s[46:47], vcc
	s_xor_b64 vcc, exec, s[46:47]
; %bb.179:                              ;   in Loop: Header=BB6_126 Depth=2
	v_bfe_u32 v3, v10, 16, 1
	v_add3_u32 v12, v10, v3, s67
                                        ; implicit-def: $vgpr10_vgpr11
; %bb.180:                              ;   in Loop: Header=BB6_126 Depth=2
	s_andn2_saveexec_b64 s[46:47], vcc
; %bb.181:                              ;   in Loop: Header=BB6_126 Depth=2
	v_or_b32_e32 v3, 0x10000, v10
	v_cmp_eq_u32_sdwa vcc, v10, v40 src0_sel:WORD_0 src1_sel:DWORD
	v_cndmask_b32_e32 v12, v3, v10, vcc
; %bb.182:                              ;   in Loop: Header=BB6_126 Depth=2
	s_or_b64 exec, exec, s[46:47]
	v_mov_b32_e32 v3, v17
	v_lshlrev_b32_e32 v4, 16, v13
	v_lshlrev_b32_e32 v6, 16, v3
	v_pk_add_f32 v[10:11], v[4:5], v[6:7] op_sel_hi:[0,1]
	v_and_b32_e32 v4, 0x7f800000, v10
	v_cmp_ne_u32_e32 vcc, s66, v4
                                        ; implicit-def: $vgpr16
	s_and_saveexec_b64 s[46:47], vcc
	s_xor_b64 vcc, exec, s[46:47]
; %bb.183:                              ;   in Loop: Header=BB6_126 Depth=2
	v_bfe_u32 v4, v10, 16, 1
	v_add3_u32 v16, v10, v4, s67
                                        ; implicit-def: $vgpr10_vgpr11
; %bb.184:                              ;   in Loop: Header=BB6_126 Depth=2
	s_andn2_saveexec_b64 s[46:47], vcc
; %bb.185:                              ;   in Loop: Header=BB6_126 Depth=2
	v_or_b32_e32 v4, 0x10000, v10
	v_cmp_eq_u32_sdwa vcc, v10, v40 src0_sel:WORD_0 src1_sel:DWORD
	v_cndmask_b32_e32 v16, v4, v10, vcc
; %bb.186:                              ;   in Loop: Header=BB6_126 Depth=2
	s_or_b64 exec, exec, s[46:47]
	v_and_b32_e32 v4, 0xffff0000, v13
	v_and_b32_e32 v6, 0xffff0000, v3
	v_pk_add_f32 v[10:11], v[4:5], v[6:7] op_sel_hi:[0,1]
	v_and_b32_e32 v3, 0x7f800000, v10
	v_cmp_ne_u32_e32 vcc, s66, v3
                                        ; implicit-def: $vgpr3
	s_and_saveexec_b64 s[46:47], vcc
	s_xor_b64 vcc, exec, s[46:47]
; %bb.187:                              ;   in Loop: Header=BB6_126 Depth=2
	v_bfe_u32 v3, v10, 16, 1
	v_add3_u32 v3, v10, v3, s67
                                        ; implicit-def: $vgpr10_vgpr11
; %bb.188:                              ;   in Loop: Header=BB6_126 Depth=2
	s_andn2_saveexec_b64 s[46:47], vcc
	s_cbranch_execz .LBB6_125
; %bb.189:                              ;   in Loop: Header=BB6_126 Depth=2
	v_or_b32_e32 v3, 0x10000, v10
	v_cmp_eq_u32_sdwa vcc, v10, v40 src0_sel:WORD_0 src1_sel:DWORD
	v_cndmask_b32_e32 v3, v3, v10, vcc
	s_branch .LBB6_125
.LBB6_190:                              ;   in Loop: Header=BB6_49 Depth=1
	s_or_b64 exec, exec, s[44:45]
	v_accvgpr_read_b32 v61, a9
	v_accvgpr_read_b32 v60, a8
	;; [unrolled: 1-line block ×6, first 2 shown]
.LBB6_191:                              ;   in Loop: Header=BB6_49 Depth=1
	s_or_b64 exec, exec, s[22:23]
	v_lshlrev_b32_e32 v1, 11, v52
	v_cmp_ne_u32_e32 vcc, v41, v1
	s_mov_b64 s[46:47], 0
	v_mov_b32_e32 v3, 0
                                        ; implicit-def: $vgpr18
                                        ; implicit-def: $vgpr10
	s_and_saveexec_b64 s[44:45], vcc
	s_cbranch_execz .LBB6_231
; %bb.192:                              ;   in Loop: Header=BB6_49 Depth=1
	v_lshlrev_b32_e32 v3, 6, v47
	v_accvgpr_read_b32 v5, a15
	v_sub_u32_e32 v3, v5, v3
	v_ashrrev_i32_e32 v5, 31, v3
	v_lshrrev_b32_e32 v5, 26, v5
	v_add_u32_e32 v5, v3, v5
	v_sub_u32_e32 v4, v41, v1
	v_ashrrev_i32_e32 v6, 6, v5
	v_and_b32_e32 v5, 0xffffffc0, v5
	v_sub_u32_e32 v52, v3, v5
	v_ashrrev_i32_e32 v5, 31, v4
	v_lshrrev_b32_e32 v5, 22, v5
	v_add_u32_e32 v5, v4, v5
	v_and_b32_e32 v53, 0xfffffc00, v5
	v_lshlrev_b32_e32 v3, 4, v52
	v_sub_u32_e32 v43, v4, v53
	v_lshl_add_u32 v3, v6, 10, v3
	v_ashrrev_i32_e32 v7, 10, v5
	v_cmp_lt_i32_e32 vcc, 15, v43
	v_sub_u32_e32 v47, v4, v3
	v_addc_co_u32_e64 v4, s[22:23], 0, v7, vcc
	v_sub_u32_e32 v42, v4, v6
	v_cmp_lt_i32_e64 s[22:23], 15, v47
	s_and_saveexec_b64 s[46:47], s[22:23]
	s_cbranch_execz .LBB6_228
; %bb.193:                              ;   in Loop: Header=BB6_49 Depth=1
	s_trap 2
	ds_read_b128 v[4:7], v0
	ds_read_b64 v[8:9], v0
	v_add_u32_e32 v3, v3, v1
	v_ashrrev_i32_e32 v10, 31, v3
	s_mov_b64 s[48:49], 0
	s_waitcnt lgkmcnt(0)
	v_add_co_u32_e64 v18, s[22:23], v4, v3
	v_addc_co_u32_e64 v19, s[22:23], v5, v10, s[22:23]
	v_add_co_u32_e64 v20, s[22:23], v6, v3
	v_addc_co_u32_e64 v21, s[22:23], v7, v10, s[22:23]
	v_add_co_u32_e64 v22, s[22:23], v8, v3
	v_addc_co_u32_e64 v23, s[22:23], v9, v10, s[22:23]
	s_branch .LBB6_195
.LBB6_194:                              ;   in Loop: Header=BB6_195 Depth=2
	s_or_b64 exec, exec, s[50:51]
	v_add_co_u32_e64 v18, s[22:23], v18, v26
	v_lshrrev_b32_e32 v4, 16, v24
	v_addc_co_u32_e64 v19, s[22:23], v19, v62, s[22:23]
	v_and_or_b32 v5, v15, s68, v4
	v_lshrrev_b32_e32 v4, 16, v56
	v_lshrrev_b32_e32 v6, 16, v25
	;; [unrolled: 1-line block ×3, first 2 shown]
	v_add_co_u32_e64 v20, s[22:23], v20, v26
	v_and_or_b32 v4, v14, s68, v4
	v_and_or_b32 v6, v12, s68, v6
	;; [unrolled: 1-line block ×3, first 2 shown]
	v_addc_co_u32_e64 v21, s[22:23], v21, v62, s[22:23]
	global_store_dwordx4 v[22:23], v[4:7], off glc slc
	v_add_co_u32_e64 v22, s[22:23], v22, v26
	v_addc_co_u32_e64 v23, s[22:23], v23, v62, s[22:23]
	v_sub_u32_e32 v47, v47, v59
	v_cmp_gt_i32_e64 s[22:23], 16, v47
	s_or_b64 s[48:49], s[22:23], s[48:49]
	v_sub_u32_e32 v42, v42, v30
	s_andn2_b64 exec, exec, s[48:49]
	s_cbranch_execz .LBB6_227
.LBB6_195:                              ;   Parent Loop BB6_49 Depth=1
                                        ; =>  This Inner Loop Header: Depth=2
	global_load_dwordx4 v[10:13], v[20:21], off glc slc
	global_load_dwordx4 v[14:17], v[18:19], off glc slc
                                        ; implicit-def: $vgpr56
	s_waitcnt vmcnt(0)
	v_lshlrev_b32_e32 v4, 16, v10
	v_lshlrev_b32_e32 v6, 16, v14
	v_pk_add_f32 v[24:25], v[4:5], v[6:7] op_sel_hi:[0,1]
	v_and_b32_e32 v3, 0x7f800000, v24
	v_cmp_ne_u32_e64 s[22:23], s66, v3
	s_and_saveexec_b64 s[50:51], s[22:23]
	s_xor_b64 s[22:23], exec, s[50:51]
; %bb.196:                              ;   in Loop: Header=BB6_195 Depth=2
	v_bfe_u32 v3, v24, 16, 1
	v_add3_u32 v56, v24, v3, s67
                                        ; implicit-def: $vgpr24_vgpr25
; %bb.197:                              ;   in Loop: Header=BB6_195 Depth=2
	s_andn2_saveexec_b64 s[50:51], s[22:23]
; %bb.198:                              ;   in Loop: Header=BB6_195 Depth=2
	v_or_b32_e32 v3, 0x10000, v24
	v_cmp_eq_u32_sdwa s[22:23], v24, v40 src0_sel:WORD_0 src1_sel:DWORD
	v_cndmask_b32_e64 v56, v3, v24, s[22:23]
; %bb.199:                              ;   in Loop: Header=BB6_195 Depth=2
	s_or_b64 exec, exec, s[50:51]
	v_and_b32_e32 v4, 0xffff0000, v10
	v_and_b32_e32 v6, 0xffff0000, v14
	v_pk_add_f32 v[24:25], v[4:5], v[6:7] op_sel_hi:[0,1]
	v_and_b32_e32 v3, 0x7f800000, v24
	v_cmp_ne_u32_e64 s[22:23], s66, v3
                                        ; implicit-def: $vgpr14
	s_and_saveexec_b64 s[50:51], s[22:23]
	s_xor_b64 s[22:23], exec, s[50:51]
; %bb.200:                              ;   in Loop: Header=BB6_195 Depth=2
	v_bfe_u32 v3, v24, 16, 1
	v_add3_u32 v14, v24, v3, s67
                                        ; implicit-def: $vgpr24_vgpr25
; %bb.201:                              ;   in Loop: Header=BB6_195 Depth=2
	s_andn2_saveexec_b64 s[50:51], s[22:23]
; %bb.202:                              ;   in Loop: Header=BB6_195 Depth=2
	v_or_b32_e32 v3, 0x10000, v24
	v_cmp_eq_u32_sdwa s[22:23], v24, v40 src0_sel:WORD_0 src1_sel:DWORD
	v_cndmask_b32_e64 v14, v3, v24, s[22:23]
; %bb.203:                              ;   in Loop: Header=BB6_195 Depth=2
	s_or_b64 exec, exec, s[50:51]
	v_mov_b32_e32 v3, v11
	v_lshlrev_b32_e32 v4, 16, v3
	v_lshlrev_b32_e32 v6, 16, v15
	v_pk_add_f32 v[10:11], v[4:5], v[6:7] op_sel_hi:[0,1]
	v_and_b32_e32 v4, 0x7f800000, v10
	v_cmp_ne_u32_e64 s[22:23], s66, v4
                                        ; implicit-def: $vgpr24
	s_and_saveexec_b64 s[50:51], s[22:23]
	s_xor_b64 s[22:23], exec, s[50:51]
; %bb.204:                              ;   in Loop: Header=BB6_195 Depth=2
	v_bfe_u32 v4, v10, 16, 1
	v_add3_u32 v24, v10, v4, s67
                                        ; implicit-def: $vgpr10_vgpr11
; %bb.205:                              ;   in Loop: Header=BB6_195 Depth=2
	s_andn2_saveexec_b64 s[50:51], s[22:23]
; %bb.206:                              ;   in Loop: Header=BB6_195 Depth=2
	v_or_b32_e32 v4, 0x10000, v10
	v_cmp_eq_u32_sdwa s[22:23], v10, v40 src0_sel:WORD_0 src1_sel:DWORD
	v_cndmask_b32_e64 v24, v4, v10, s[22:23]
; %bb.207:                              ;   in Loop: Header=BB6_195 Depth=2
	s_or_b64 exec, exec, s[50:51]
	v_and_b32_e32 v4, 0xffff0000, v3
	v_and_b32_e32 v6, 0xffff0000, v15
	v_pk_add_f32 v[10:11], v[4:5], v[6:7] op_sel_hi:[0,1]
	v_and_b32_e32 v3, 0x7f800000, v10
	v_cmp_ne_u32_e64 s[22:23], s66, v3
                                        ; implicit-def: $vgpr15
	s_and_saveexec_b64 s[50:51], s[22:23]
	s_xor_b64 s[22:23], exec, s[50:51]
; %bb.208:                              ;   in Loop: Header=BB6_195 Depth=2
	v_bfe_u32 v3, v10, 16, 1
	v_add3_u32 v15, v10, v3, s67
                                        ; implicit-def: $vgpr10_vgpr11
; %bb.209:                              ;   in Loop: Header=BB6_195 Depth=2
	s_andn2_saveexec_b64 s[50:51], s[22:23]
; %bb.210:                              ;   in Loop: Header=BB6_195 Depth=2
	v_or_b32_e32 v3, 0x10000, v10
	v_cmp_eq_u32_sdwa s[22:23], v10, v40 src0_sel:WORD_0 src1_sel:DWORD
	v_cndmask_b32_e64 v15, v3, v10, s[22:23]
; %bb.211:                              ;   in Loop: Header=BB6_195 Depth=2
	s_or_b64 exec, exec, s[50:51]
	v_lshlrev_b32_e32 v4, 16, v12
	v_lshlrev_b32_e32 v6, 16, v16
	v_pk_add_f32 v[10:11], v[4:5], v[6:7] op_sel_hi:[0,1]
	v_and_b32_e32 v3, 0x7f800000, v10
	v_cmp_ne_u32_e64 s[22:23], s66, v3
                                        ; implicit-def: $vgpr25
	s_and_saveexec_b64 s[50:51], s[22:23]
	s_xor_b64 s[22:23], exec, s[50:51]
; %bb.212:                              ;   in Loop: Header=BB6_195 Depth=2
	v_bfe_u32 v3, v10, 16, 1
	v_add3_u32 v25, v10, v3, s67
                                        ; implicit-def: $vgpr10_vgpr11
; %bb.213:                              ;   in Loop: Header=BB6_195 Depth=2
	s_andn2_saveexec_b64 s[50:51], s[22:23]
; %bb.214:                              ;   in Loop: Header=BB6_195 Depth=2
	v_or_b32_e32 v3, 0x10000, v10
	v_cmp_eq_u32_sdwa s[22:23], v10, v40 src0_sel:WORD_0 src1_sel:DWORD
	v_cndmask_b32_e64 v25, v3, v10, s[22:23]
; %bb.215:                              ;   in Loop: Header=BB6_195 Depth=2
	s_or_b64 exec, exec, s[50:51]
	v_and_b32_e32 v4, 0xffff0000, v12
	v_and_b32_e32 v6, 0xffff0000, v16
	v_pk_add_f32 v[10:11], v[4:5], v[6:7] op_sel_hi:[0,1]
	v_and_b32_e32 v3, 0x7f800000, v10
	v_cmp_ne_u32_e64 s[22:23], s66, v3
                                        ; implicit-def: $vgpr12
	s_and_saveexec_b64 s[50:51], s[22:23]
	s_xor_b64 s[22:23], exec, s[50:51]
; %bb.216:                              ;   in Loop: Header=BB6_195 Depth=2
	v_bfe_u32 v3, v10, 16, 1
	v_add3_u32 v12, v10, v3, s67
                                        ; implicit-def: $vgpr10_vgpr11
; %bb.217:                              ;   in Loop: Header=BB6_195 Depth=2
	s_andn2_saveexec_b64 s[50:51], s[22:23]
; %bb.218:                              ;   in Loop: Header=BB6_195 Depth=2
	v_or_b32_e32 v3, 0x10000, v10
	v_cmp_eq_u32_sdwa s[22:23], v10, v40 src0_sel:WORD_0 src1_sel:DWORD
	v_cndmask_b32_e64 v12, v3, v10, s[22:23]
; %bb.219:                              ;   in Loop: Header=BB6_195 Depth=2
	s_or_b64 exec, exec, s[50:51]
	v_mov_b32_e32 v3, v17
	v_lshlrev_b32_e32 v4, 16, v13
	v_lshlrev_b32_e32 v6, 16, v3
	v_pk_add_f32 v[10:11], v[4:5], v[6:7] op_sel_hi:[0,1]
	v_and_b32_e32 v4, 0x7f800000, v10
	v_cmp_ne_u32_e64 s[22:23], s66, v4
                                        ; implicit-def: $vgpr16
	s_and_saveexec_b64 s[50:51], s[22:23]
	s_xor_b64 s[22:23], exec, s[50:51]
; %bb.220:                              ;   in Loop: Header=BB6_195 Depth=2
	v_bfe_u32 v4, v10, 16, 1
	v_add3_u32 v16, v10, v4, s67
                                        ; implicit-def: $vgpr10_vgpr11
; %bb.221:                              ;   in Loop: Header=BB6_195 Depth=2
	s_andn2_saveexec_b64 s[50:51], s[22:23]
; %bb.222:                              ;   in Loop: Header=BB6_195 Depth=2
	v_or_b32_e32 v4, 0x10000, v10
	v_cmp_eq_u32_sdwa s[22:23], v10, v40 src0_sel:WORD_0 src1_sel:DWORD
	v_cndmask_b32_e64 v16, v4, v10, s[22:23]
; %bb.223:                              ;   in Loop: Header=BB6_195 Depth=2
	s_or_b64 exec, exec, s[50:51]
	v_and_b32_e32 v4, 0xffff0000, v13
	v_and_b32_e32 v6, 0xffff0000, v3
	v_pk_add_f32 v[10:11], v[4:5], v[6:7] op_sel_hi:[0,1]
	v_and_b32_e32 v3, 0x7f800000, v10
	v_cmp_ne_u32_e64 s[22:23], s66, v3
                                        ; implicit-def: $vgpr3
	s_and_saveexec_b64 s[50:51], s[22:23]
	s_xor_b64 s[22:23], exec, s[50:51]
; %bb.224:                              ;   in Loop: Header=BB6_195 Depth=2
	v_bfe_u32 v3, v10, 16, 1
	v_add3_u32 v3, v10, v3, s67
                                        ; implicit-def: $vgpr10_vgpr11
; %bb.225:                              ;   in Loop: Header=BB6_195 Depth=2
	s_andn2_saveexec_b64 s[50:51], s[22:23]
	s_cbranch_execz .LBB6_194
; %bb.226:                              ;   in Loop: Header=BB6_195 Depth=2
	v_or_b32_e32 v3, 0x10000, v10
	v_cmp_eq_u32_sdwa s[22:23], v10, v40 src0_sel:WORD_0 src1_sel:DWORD
	v_cndmask_b32_e64 v3, v3, v10, s[22:23]
	s_branch .LBB6_194
.LBB6_227:                              ;   in Loop: Header=BB6_49 Depth=1
	s_or_b64 exec, exec, s[48:49]
.LBB6_228:                              ;   in Loop: Header=BB6_49 Depth=1
	s_or_b64 exec, exec, s[46:47]
	v_and_b32_e32 v11, 14, v41
	v_cndmask_b32_e32 v41, v43, v11, vcc
	v_cmp_ne_u32_e64 s[22:23], 0, v41
	s_mov_b64 s[46:47], 0
	v_mov_b32_e32 v3, 0
                                        ; implicit-def: $vgpr18
                                        ; implicit-def: $vgpr10
	s_and_saveexec_b64 s[48:49], s[22:23]
	s_cbranch_execz .LBB6_230
; %bb.229:                              ;   in Loop: Header=BB6_49 Depth=1
	v_sub_u32_e32 v3, v43, v11
	v_cndmask_b32_e32 v3, 0, v3, vcc
	v_cmp_lt_i32_e32 vcc, 0, v42
	v_add3_u32 v3, v53, v1, v3
	v_cndmask_b32_e32 v1, 0, v30, vcc
	v_sub_u32_e32 v1, v1, v42
	v_lshl_add_u32 v18, v1, 6, v52
	v_ashrrev_i32_e32 v1, 31, v18
	v_lshrrev_b32_e32 v1, 26, v1
	v_add_u32_e32 v1, v18, v1
	s_mov_b64 s[46:47], exec
	v_ashrrev_i32_e32 v10, 6, v1
.LBB6_230:                              ;   in Loop: Header=BB6_49 Depth=1
	s_or_b64 exec, exec, s[48:49]
	s_and_b64 s[46:47], s[46:47], exec
	v_accvgpr_read_b32 v42, a22
.LBB6_231:                              ;   in Loop: Header=BB6_49 Depth=1
	s_or_b64 exec, exec, s[44:45]
	v_mov_b32_e32 v21, 1
	s_and_saveexec_b64 s[22:23], s[46:47]
	s_cbranch_execz .LBB6_260
.LBB6_232:                              ;   in Loop: Header=BB6_49 Depth=1
	v_ashrrev_i32_e32 v1, 31, v41
	v_lshrrev_b32_e32 v1, 23, v1
	v_add_u32_e32 v1, v41, v1
	v_ashrrev_i32_e32 v20, 9, v1
	v_sub_u32_e32 v1, v20, v10
	v_ashrrev_i32_e32 v4, 31, v18
	v_cmp_lt_i32_e32 vcc, 0, v1
	v_lshrrev_b32_e32 v19, 26, v4
	s_and_saveexec_b64 s[44:45], vcc
	s_cbranch_execz .LBB6_252
; %bb.233:                              ;   in Loop: Header=BB6_49 Depth=1
	v_add_u32_e32 v4, v18, v19
	v_and_b32_e32 v4, 0x7fffffc0, v4
	v_sub_u32_e32 v4, v18, v4
	s_trap 2
	v_lshlrev_b32_e32 v8, 1, v4
	ds_read_b128 v[4:7], v0
	v_lshlrev_b32_e32 v9, 9, v10
	v_add3_u32 v14, v8, v3, v9
	ds_read_b64 v[8:9], v0
	v_ashrrev_i32_e32 v15, 31, v14
	s_waitcnt lgkmcnt(0)
	v_add_co_u32_e32 v10, vcc, v4, v14
	v_addc_co_u32_e32 v11, vcc, v5, v15, vcc
	v_add_co_u32_e32 v12, vcc, v6, v14
	v_addc_co_u32_e32 v13, vcc, v7, v15, vcc
	;; [unrolled: 2-line block ×3, first 2 shown]
	s_mov_b64 s[46:47], 0
	s_branch .LBB6_235
.LBB6_234:                              ;   in Loop: Header=BB6_235 Depth=2
	s_or_b64 exec, exec, s[48:49]
	v_add_co_u32_e32 v10, vcc, v10, v31
	v_addc_co_u32_e32 v11, vcc, v11, v2, vcc
	v_add_co_u32_e32 v12, vcc, v12, v31
	v_addc_co_u32_e32 v13, vcc, v13, v2, vcc
	v_sub_u32_e32 v1, v1, v30
	v_cmp_gt_i32_e32 vcc, 1, v1
	flat_store_short_d16_hi v[14:15], v21 glc slc
	flat_store_short_d16_hi v[14:15], v24 offset:128 glc slc
	flat_store_short_d16_hi v[14:15], v25 offset:256 glc slc
	;; [unrolled: 1-line block ×3, first 2 shown]
	s_or_b64 s[46:47], vcc, s[46:47]
	v_add_co_u32_e32 v14, vcc, v14, v31
	v_addc_co_u32_e32 v15, vcc, v15, v2, vcc
	s_andn2_b64 exec, exec, s[46:47]
	s_cbranch_execz .LBB6_251
.LBB6_235:                              ;   Parent Loop BB6_49 Depth=1
                                        ; =>  This Inner Loop Header: Depth=2
	flat_load_ushort v25, v[10:11] offset:256 glc slc
	flat_load_ushort v22, v[10:11] offset:384 glc slc
	;; [unrolled: 1-line block ×4, first 2 shown]
	flat_load_ushort v4, v[12:13] glc slc
	flat_load_ushort v5, v[10:11] glc slc
	flat_load_ushort v24, v[10:11] offset:128 glc slc
	flat_load_ushort v53, v[12:13] offset:128 glc slc
                                        ; implicit-def: $vgpr21
	s_waitcnt vmcnt(0) lgkmcnt(0)
	v_lshlrev_b32_e32 v4, 16, v4
	v_lshlrev_b32_e32 v6, 16, v5
	v_pk_add_f32 v[16:17], v[4:5], v[6:7] op_sel_hi:[0,1]
	v_and_b32_e32 v4, 0x7f800000, v16
	v_cmp_ne_u32_e32 vcc, s66, v4
	s_and_saveexec_b64 s[48:49], vcc
	s_xor_b64 vcc, exec, s[48:49]
; %bb.236:                              ;   in Loop: Header=BB6_235 Depth=2
	v_bfe_u32 v4, v16, 16, 1
	v_add3_u32 v21, v16, v4, s67
                                        ; implicit-def: $vgpr16_vgpr17
; %bb.237:                              ;   in Loop: Header=BB6_235 Depth=2
	s_andn2_saveexec_b64 s[48:49], vcc
; %bb.238:                              ;   in Loop: Header=BB6_235 Depth=2
	v_or_b32_e32 v4, 0x10000, v16
	v_cmp_eq_u32_sdwa vcc, v16, v40 src0_sel:WORD_0 src1_sel:DWORD
	v_cndmask_b32_e32 v21, v4, v16, vcc
; %bb.239:                              ;   in Loop: Header=BB6_235 Depth=2
	s_or_b64 exec, exec, s[48:49]
	v_lshlrev_b32_e32 v4, 16, v53
	v_lshlrev_b32_e32 v6, 16, v24
	v_pk_add_f32 v[16:17], v[4:5], v[6:7] op_sel_hi:[0,1]
	v_and_b32_e32 v4, 0x7f800000, v16
	v_cmp_ne_u32_e32 vcc, s66, v4
                                        ; implicit-def: $vgpr24
	s_and_saveexec_b64 s[48:49], vcc
	s_xor_b64 vcc, exec, s[48:49]
; %bb.240:                              ;   in Loop: Header=BB6_235 Depth=2
	v_bfe_u32 v4, v16, 16, 1
	v_add3_u32 v24, v16, v4, s67
                                        ; implicit-def: $vgpr16_vgpr17
; %bb.241:                              ;   in Loop: Header=BB6_235 Depth=2
	s_andn2_saveexec_b64 s[48:49], vcc
; %bb.242:                              ;   in Loop: Header=BB6_235 Depth=2
	v_or_b32_e32 v4, 0x10000, v16
	v_cmp_eq_u32_sdwa vcc, v16, v40 src0_sel:WORD_0 src1_sel:DWORD
	v_cndmask_b32_e32 v24, v4, v16, vcc
; %bb.243:                              ;   in Loop: Header=BB6_235 Depth=2
	s_or_b64 exec, exec, s[48:49]
	v_lshlrev_b32_e32 v4, 16, v52
	v_lshlrev_b32_e32 v6, 16, v25
	v_pk_add_f32 v[16:17], v[4:5], v[6:7] op_sel_hi:[0,1]
	v_and_b32_e32 v4, 0x7f800000, v16
	v_cmp_ne_u32_e32 vcc, s66, v4
                                        ; implicit-def: $vgpr25
	s_and_saveexec_b64 s[48:49], vcc
	s_xor_b64 vcc, exec, s[48:49]
; %bb.244:                              ;   in Loop: Header=BB6_235 Depth=2
	v_bfe_u32 v4, v16, 16, 1
	v_add3_u32 v25, v16, v4, s67
                                        ; implicit-def: $vgpr16_vgpr17
; %bb.245:                              ;   in Loop: Header=BB6_235 Depth=2
	s_andn2_saveexec_b64 s[48:49], vcc
; %bb.246:                              ;   in Loop: Header=BB6_235 Depth=2
	v_or_b32_e32 v4, 0x10000, v16
	v_cmp_eq_u32_sdwa vcc, v16, v40 src0_sel:WORD_0 src1_sel:DWORD
	v_cndmask_b32_e32 v25, v4, v16, vcc
; %bb.247:                              ;   in Loop: Header=BB6_235 Depth=2
	s_or_b64 exec, exec, s[48:49]
	v_lshlrev_b32_e32 v4, 16, v23
	v_lshlrev_b32_e32 v6, 16, v22
	v_pk_add_f32 v[16:17], v[4:5], v[6:7] op_sel_hi:[0,1]
	v_and_b32_e32 v4, 0x7f800000, v16
	v_cmp_ne_u32_e32 vcc, s66, v4
                                        ; implicit-def: $vgpr22
	s_and_saveexec_b64 s[48:49], vcc
	s_xor_b64 vcc, exec, s[48:49]
; %bb.248:                              ;   in Loop: Header=BB6_235 Depth=2
	v_bfe_u32 v4, v16, 16, 1
	v_add3_u32 v22, v16, v4, s67
                                        ; implicit-def: $vgpr16_vgpr17
; %bb.249:                              ;   in Loop: Header=BB6_235 Depth=2
	s_andn2_saveexec_b64 s[48:49], vcc
	s_cbranch_execz .LBB6_234
; %bb.250:                              ;   in Loop: Header=BB6_235 Depth=2
	v_or_b32_e32 v4, 0x10000, v16
	v_cmp_eq_u32_sdwa vcc, v16, v40 src0_sel:WORD_0 src1_sel:DWORD
	v_cndmask_b32_e32 v22, v4, v16, vcc
	s_branch .LBB6_234
.LBB6_251:                              ;   in Loop: Header=BB6_49 Depth=1
	s_or_b64 exec, exec, s[46:47]
	v_mov_b32_e32 v21, 1
.LBB6_252:                              ;   in Loop: Header=BB6_49 Depth=1
	s_or_b64 exec, exec, s[44:45]
	v_lshlrev_b32_e32 v10, 9, v20
	v_cmp_ne_u32_e32 vcc, v41, v10
	s_and_b64 exec, exec, vcc
	s_cbranch_execz .LBB6_260
; %bb.253:                              ;   in Loop: Header=BB6_49 Depth=1
	v_add_u32_e32 v4, v18, v19
	v_and_b32_e32 v4, 0xffffffc0, v4
	v_sub_u32_e32 v4, v18, v4
	v_lshlrev_b32_e32 v1, 6, v1
	v_sub_u32_e32 v1, v4, v1
	v_ashrrev_i32_e32 v4, 31, v1
	v_lshrrev_b32_e32 v4, 26, v4
	v_add_u32_e32 v4, v1, v4
	v_and_b32_e32 v5, 0x7fffffc0, v4
	v_sub_u32_e32 v1, v1, v5
	v_lshlrev_b32_e32 v4, 1, v4
	v_and_b32_e32 v4, 0xffffff80, v4
	v_lshlrev_b32_e32 v1, 1, v1
	v_add3_u32 v10, v4, v1, v10
	v_sub_u32_e32 v1, v41, v10
	v_cmp_lt_i32_e32 vcc, 1, v1
	s_and_b64 exec, exec, vcc
	s_cbranch_execz .LBB6_260
; %bb.254:                              ;   in Loop: Header=BB6_49 Depth=1
	s_trap 2
	ds_read_b128 v[4:7], v0
	ds_read_b64 v[8:9], v0
	v_add_u32_e32 v3, v10, v3
	v_ashrrev_i32_e32 v15, 31, v3
	s_mov_b64 s[44:45], 0
	s_waitcnt lgkmcnt(0)
	v_add_co_u32_e32 v10, vcc, v4, v3
	v_addc_co_u32_e32 v11, vcc, v5, v15, vcc
	v_add_co_u32_e32 v12, vcc, v6, v3
	v_addc_co_u32_e32 v13, vcc, v7, v15, vcc
	;; [unrolled: 2-line block ×3, first 2 shown]
	s_branch .LBB6_256
.LBB6_255:                              ;   in Loop: Header=BB6_256 Depth=2
	s_or_b64 exec, exec, s[46:47]
	v_add_co_u32_e32 v10, vcc, v10, v50
	v_addc_co_u32_e32 v11, vcc, v11, v51, vcc
	v_add_co_u32_e32 v12, vcc, v12, v50
	v_addc_co_u32_e32 v13, vcc, v13, v51, vcc
	v_sub_u32_e32 v1, v1, v42
	v_cmp_gt_i32_e32 vcc, 2, v1
	flat_store_short_d16_hi v[14:15], v3 glc slc
	s_or_b64 s[44:45], vcc, s[44:45]
	v_add_co_u32_e32 v14, vcc, v14, v50
	v_addc_co_u32_e32 v15, vcc, v15, v51, vcc
	s_andn2_b64 exec, exec, s[44:45]
	s_cbranch_execz .LBB6_260
.LBB6_256:                              ;   Parent Loop BB6_49 Depth=1
                                        ; =>  This Inner Loop Header: Depth=2
	flat_load_ushort v3, v[12:13] glc slc
	flat_load_ushort v5, v[10:11] glc slc
	s_waitcnt vmcnt(0) lgkmcnt(0)
	v_lshlrev_b32_e32 v4, 16, v3
	v_lshlrev_b32_e32 v6, 16, v5
	v_pk_add_f32 v[16:17], v[4:5], v[6:7] op_sel_hi:[0,1]
	v_and_b32_e32 v3, 0x7f800000, v16
	v_cmp_ne_u32_e32 vcc, s66, v3
                                        ; implicit-def: $vgpr3
	s_and_saveexec_b64 s[46:47], vcc
	s_xor_b64 vcc, exec, s[46:47]
; %bb.257:                              ;   in Loop: Header=BB6_256 Depth=2
	v_bfe_u32 v3, v16, 16, 1
	v_add3_u32 v3, v16, v3, s67
                                        ; implicit-def: $vgpr16_vgpr17
; %bb.258:                              ;   in Loop: Header=BB6_256 Depth=2
	s_andn2_saveexec_b64 s[46:47], vcc
	s_cbranch_execz .LBB6_255
; %bb.259:                              ;   in Loop: Header=BB6_256 Depth=2
	v_or_b32_e32 v3, 0x10000, v16
	v_cmp_eq_u32_sdwa vcc, v16, v40 src0_sel:WORD_0 src1_sel:DWORD
	v_cndmask_b32_e32 v3, v3, v16, vcc
	s_branch .LBB6_255
.LBB6_260:                              ;   in Loop: Header=BB6_49 Depth=1
	s_or_b64 exec, exec, s[22:23]
	v_cmp_ne_u32_e64 s[22:23], 0, v29
.LBB6_261:                              ;   in Loop: Header=BB6_49 Depth=1
	s_and_saveexec_b64 s[44:45], s[12:13]
	s_cbranch_execz .LBB6_280
; %bb.262:                              ;   in Loop: Header=BB6_49 Depth=1
	s_and_saveexec_b64 vcc, s[34:35]
	s_xor_b64 s[46:47], exec, vcc
	s_cbranch_execz .LBB6_277
; %bb.263:                              ;   in Loop: Header=BB6_49 Depth=1
	s_and_saveexec_b64 s[48:49], s[14:15]
	s_cbranch_execz .LBB6_276
; %bb.264:                              ;   in Loop: Header=BB6_49 Depth=1
	s_mov_b64 s[52:53], exec
	v_mbcnt_lo_u32_b32 v1, s52, 0
	v_mbcnt_hi_u32_b32 v1, s53, v1
	v_cmp_eq_u32_e32 vcc, 0, v1
	s_waitcnt vmcnt(0) lgkmcnt(0)
	buffer_wbinvl1_vol
	s_and_saveexec_b64 s[50:51], vcc
	s_cbranch_execz .LBB6_266
; %bb.265:                              ;   in Loop: Header=BB6_49 Depth=1
	s_bcnt1_i32_b64 vcc_lo, s[52:53]
	v_mov_b32_e32 v4, vcc_lo
	v_mov_b32_e32 v5, v40
	ds_add_u64 v0, v[4:5]
	s_trap 2
.LBB6_266:                              ;   in Loop: Header=BB6_49 Depth=1
	s_or_b64 exec, exec, s[50:51]
	s_trap 2
	ds_read_b64 v[4:5], v0
	v_add_co_u32_e32 v38, vcc, v38, v30
	v_addc_co_u32_e32 v39, vcc, 0, v39, vcc
	s_waitcnt lgkmcnt(0)
	v_cmp_lt_u64_e32 vcc, v[4:5], v[38:39]
	s_and_saveexec_b64 s[50:51], vcc
	s_cbranch_execz .LBB6_275
; %bb.267:                              ;   in Loop: Header=BB6_49 Depth=1
	s_mov_b32 s69, 0
	s_mov_b64 s[52:53], 0
                                        ; implicit-def: $sgpr54_sgpr55
                                        ; implicit-def: $sgpr56_sgpr57
	s_branch .LBB6_269
.LBB6_268:                              ;   in Loop: Header=BB6_269 Depth=2
	s_or_b64 exec, exec, s[60:61]
	s_and_b64 vcc, exec, vcc
	s_or_b64 s[52:53], vcc, s[52:53]
	s_andn2_b64 vcc, s[54:55], exec
	s_and_b64 s[54:55], s[56:57], exec
	s_or_b64 s[54:55], vcc, s[54:55]
	s_andn2_b64 exec, exec, s[52:53]
	s_cbranch_execz .LBB6_273
.LBB6_269:                              ;   Parent Loop BB6_49 Depth=1
                                        ; =>  This Inner Loop Header: Depth=2
	s_add_i32 s69, s69, 1
	s_cmpk_lg_i32 s69, 0x2710
	s_cselect_b64 s[58:59], -1, 0
	s_and_b64 vcc, exec, s[58:59]
                                        ; implicit-def: $sgpr60_sgpr61
	s_cbranch_vccnz .LBB6_271
; %bb.270:                              ;   in Loop: Header=BB6_269 Depth=2
	s_trap 2
	ds_read_b64 v[4:5], v0
	s_andn2_b64 s[58:59], s[58:59], exec
	s_mov_b32 s69, 0
	s_mov_b64 s[60:61], -1
	s_waitcnt lgkmcnt(0)
	flat_load_dword v1, v[4:5] glc
	s_waitcnt vmcnt(0) lgkmcnt(0)
	buffer_invl2
	buffer_wbinvl1_vol
	v_cmp_eq_u32_e32 vcc, 0, v1
	s_and_b64 vcc, vcc, exec
	s_or_b64 s[58:59], s[58:59], vcc
.LBB6_271:                              ;   in Loop: Header=BB6_269 Depth=2
	s_andn2_b64 s[56:57], s[56:57], exec
	s_and_b64 s[60:61], s[60:61], exec
	s_mov_b64 vcc, -1
	s_or_b64 s[56:57], s[56:57], s[60:61]
	s_and_saveexec_b64 s[60:61], s[58:59]
	s_cbranch_execz .LBB6_268
; %bb.272:                              ;   in Loop: Header=BB6_269 Depth=2
	s_sleep 1
	s_trap 2
	ds_read_b64 v[4:5], v0
	s_andn2_b64 s[56:57], s[56:57], exec
	s_waitcnt lgkmcnt(0)
	v_cmp_ge_u64_e32 vcc, v[4:5], v[38:39]
	s_orn2_b64 vcc, vcc, exec
	s_branch .LBB6_268
.LBB6_273:                              ;   in Loop: Header=BB6_49 Depth=1
	s_or_b64 exec, exec, s[52:53]
	s_and_saveexec_b64 vcc, s[54:55]
	s_xor_b64 vcc, exec, vcc
	s_cbranch_execz .LBB6_275
; %bb.274:                              ;   in Loop: Header=BB6_49 Depth=1
	ds_write_b32 v0, v21
	s_trap 2
.LBB6_275:                              ;   in Loop: Header=BB6_49 Depth=1
	s_or_b64 exec, exec, s[50:51]
	;;#ASMSTART
	s_wakeup
	;;#ASMEND
.LBB6_276:                              ;   in Loop: Header=BB6_49 Depth=1
	s_or_b64 exec, exec, s[48:49]
.LBB6_277:                              ;   in Loop: Header=BB6_49 Depth=1
	s_andn2_saveexec_b64 vcc, s[46:47]
	s_cbranch_execz .LBB6_279
; %bb.278:                              ;   in Loop: Header=BB6_49 Depth=1
	s_waitcnt vmcnt(0) lgkmcnt(0)
	buffer_wbinvl1_vol
	s_barrier
.LBB6_279:                              ;   in Loop: Header=BB6_49 Depth=1
	s_or_b64 exec, exec, vcc
.LBB6_280:                              ;   in Loop: Header=BB6_49 Depth=1
	s_or_b64 exec, exec, s[44:45]
	v_and_b32_e32 v1, 16, v54
	v_cmp_ne_u32_e32 vcc, 0, v1
	s_and_b64 vcc, vcc, s[22:23]
	s_and_saveexec_b64 s[22:23], vcc
	s_cbranch_execz .LBB6_282
; %bb.281:                              ;   in Loop: Header=BB6_49 Depth=1
	s_waitcnt vmcnt(0) lgkmcnt(0)
	buffer_wbinvl1_vol
.LBB6_282:                              ;   in Loop: Header=BB6_49 Depth=1
	s_or_b64 exec, exec, s[22:23]
	v_cmp_ne_u32_e32 vcc, 0, v1
	s_xor_b64 s[22:23], s[20:21], -1
	s_and_b64 vcc, vcc, s[22:23]
	s_and_saveexec_b64 s[22:23], vcc
	s_cbranch_execz .LBB6_284
; %bb.283:                              ;   in Loop: Header=BB6_49 Depth=1
	v_accvgpr_read_b32 v4, a16
	v_accvgpr_read_b32 v5, a17
	flat_store_dword v[4:5], v21
.LBB6_284:                              ;   in Loop: Header=BB6_49 Depth=1
	s_or_b64 exec, exec, s[22:23]
	v_and_b32_e32 v1, 48, v54
	v_cmp_ne_u32_e32 vcc, 0, v1
	s_and_saveexec_b64 s[22:23], vcc
	s_cbranch_execz .LBB6_286
; %bb.285:                              ;   in Loop: Header=BB6_49 Depth=1
	v_accvgpr_read_b32 v4, a10
	v_accvgpr_read_b32 v6, a12
	;; [unrolled: 1-line block ×3, first 2 shown]
	v_add_co_u32_e32 v6, vcc, 1, v6
	v_addc_co_u32_e32 v7, vcc, 0, v7, vcc
	v_accvgpr_read_b32 v5, a11
	v_accvgpr_write_b32 a13, v7
	v_accvgpr_write_b32 a12, v6
	;; [unrolled: 1-line block ×4, first 2 shown]
	flat_store_dwordx2 v[32:33], v[6:7]
.LBB6_286:                              ;   in Loop: Header=BB6_49 Depth=1
	s_or_b64 exec, exec, s[22:23]
	v_mov_b32_e32 v1, v28
.LBB6_287:                              ;   in Loop: Header=BB6_49 Depth=1
	s_or_b64 exec, exec, s[42:43]
	s_and_saveexec_b64 s[42:43], s[40:41]
	s_cbranch_execz .LBB6_48
; %bb.288:                              ;   in Loop: Header=BB6_49 Depth=1
	v_and_b32_e32 v3, 12, v54
	v_cmp_ne_u32_e32 vcc, 0, v3
	s_mov_b64 s[40:41], -1
	s_and_saveexec_b64 s[22:23], vcc
	s_cbranch_execz .LBB6_300
; %bb.289:                              ;   in Loop: Header=BB6_49 Depth=1
	v_and_b32_e32 v10, 8, v54
	v_add_co_u32_e32 v4, vcc, v36, v10
	v_accvgpr_read_b32 v6, a10
	v_addc_co_u32_e32 v5, vcc, 0, v37, vcc
	v_accvgpr_read_b32 v8, a12
	v_accvgpr_read_b32 v9, a13
	v_add_co_u32_e32 v12, vcc, 1, v8
	v_addc_co_u32_e32 v13, vcc, 0, v9, vcc
	v_cmp_lt_u64_e32 vcc, v[4:5], v[12:13]
	v_mov_b32_e32 v3, 1
	v_accvgpr_read_b32 v7, a11
	s_and_saveexec_b64 s[40:41], vcc
	s_cbranch_execz .LBB6_299
; %bb.290:                              ;   in Loop: Header=BB6_49 Depth=1
	s_mov_b64 s[44:45], 0
	v_mov_b32_e32 v3, 0
                                        ; implicit-def: $sgpr46_sgpr47
	s_branch .LBB6_294
.LBB6_291:                              ;   in Loop: Header=BB6_294 Depth=2
	s_or_b64 exec, exec, s[54:55]
	v_mov_b32_e32 v11, 0
	s_orn2_b64 s[52:53], s[52:53], exec
.LBB6_292:                              ;   in Loop: Header=BB6_294 Depth=2
	s_or_b64 exec, exec, s[50:51]
	s_andn2_b64 vcc, s[46:47], exec
	s_and_b64 s[46:47], s[52:53], exec
	s_or_b64 s[46:47], vcc, s[46:47]
	v_mov_b32_e32 v3, v11
.LBB6_293:                              ;   in Loop: Header=BB6_294 Depth=2
	s_or_b64 exec, exec, s[48:49]
	s_waitcnt vmcnt(0) lgkmcnt(0)
	v_add_co_u32_e32 v4, vcc, v36, v10
	v_addc_co_u32_e32 v5, vcc, 0, v37, vcc
	v_cmp_ge_u64_e32 vcc, v[4:5], v[12:13]
	s_xor_b64 s[48:49], s[46:47], -1
	s_or_b64 vcc, s[48:49], vcc
	s_and_b64 vcc, exec, vcc
	s_or_b64 s[44:45], vcc, s[44:45]
	s_andn2_b64 exec, exec, s[44:45]
	s_cbranch_execz .LBB6_298
.LBB6_294:                              ;   Parent Loop BB6_49 Depth=1
                                        ; =>  This Inner Loop Header: Depth=2
	s_sleep 1
	flat_load_dwordx2 v[36:37], v[32:33] glc
	v_and_b32_e32 v4, 64, v54
	v_cmp_eq_u32_e32 vcc, 0, v4
	s_andn2_b64 s[46:47], s[46:47], exec
	s_and_saveexec_b64 s[48:49], vcc
	s_cbranch_execz .LBB6_293
; %bb.295:                              ;   in Loop: Header=BB6_294 Depth=2
	v_add_u32_e32 v11, 1, v3
	v_cmp_lt_i32_e32 vcc, s64, v3
	s_mov_b64 s[52:53], -1
	s_and_saveexec_b64 s[50:51], vcc
	s_cbranch_execz .LBB6_292
; %bb.296:                              ;   in Loop: Header=BB6_294 Depth=2
	s_trap 2
	ds_read_b64 v[4:5], v0
	s_waitcnt vmcnt(0) lgkmcnt(0)
	flat_load_dword v3, v[4:5] glc
	s_waitcnt vmcnt(0) lgkmcnt(0)
	buffer_invl2
	buffer_wbinvl1_vol
	v_cmp_ne_u32_e32 vcc, 0, v3
	s_and_saveexec_b64 s[54:55], vcc
	s_cbranch_execz .LBB6_291
; %bb.297:                              ;   in Loop: Header=BB6_294 Depth=2
	v_or_b32_e32 v54, 64, v54
	s_xor_b64 s[52:53], exec, -1
	ds_write_b32 v0, v3
	s_trap 2
	s_branch .LBB6_291
.LBB6_298:                              ;   in Loop: Header=BB6_49 Depth=1
	s_or_b64 exec, exec, s[44:45]
	v_and_b32_e32 v3, 12, v54
.LBB6_299:                              ;   in Loop: Header=BB6_49 Depth=1
	s_or_b64 exec, exec, s[40:41]
	v_cmp_eq_u32_e32 vcc, 0, v3
	s_orn2_b64 s[40:41], vcc, exec
	;;#ASMSTART
	s_wakeup
	;;#ASMEND
.LBB6_300:                              ;   in Loop: Header=BB6_49 Depth=1
	s_or_b64 exec, exec, s[22:23]
	v_sub_u32_e32 v1, v46, v1
	s_xor_b64 s[22:23], s[40:41], -1
	v_min_i32_e32 v10, v28, v1
	s_and_saveexec_b64 s[40:41], s[22:23]
	s_cbranch_execz .LBB6_314
; %bb.301:                              ;   in Loop: Header=BB6_49 Depth=1
	v_accvgpr_read_b32 v4, a10
	v_and_b32_e32 v1, 0x108, v54
	v_accvgpr_read_b32 v6, a12
	v_cmp_ne_u32_e32 vcc, s65, v1
	v_and_b32_e32 v12, 7, v6
	v_accvgpr_read_b32 v5, a11
	v_accvgpr_read_b32 v7, a13
	s_and_saveexec_b64 s[22:23], vcc
	s_xor_b64 s[22:23], exec, s[22:23]
                                        ; implicit-def: $vgpr14_vgpr15
; %bb.302:                              ;   in Loop: Header=BB6_49 Depth=1
	v_mov_b32_e32 v15, v40
; %bb.303:                              ;   in Loop: Header=BB6_49 Depth=1
	s_andn2_saveexec_b64 s[22:23], s[22:23]
	s_cbranch_execz .LBB6_305
; %bb.304:                              ;   in Loop: Header=BB6_49 Depth=1
	v_accvgpr_read_b32 v4, a10
	v_accvgpr_read_b32 v5, a11
	;; [unrolled: 1-line block ×4, first 2 shown]
	v_ashrrev_i32_e32 v11, 31, v10
	v_mov_b32_e32 v15, v40
	v_mad_u64_u32 v[4:5], vcc, v12, 24, v[4:5]
	v_lshlrev_b64 v[6:7], 1, v[10:11]
	flat_store_dwordx2 v[4:5], v[6:7] offset:8
.LBB6_305:                              ;   in Loop: Header=BB6_49 Depth=1
	s_or_b64 exec, exec, s[22:23]
	v_and_b32_e32 v1, 0x100, v54
	v_cmp_ne_u32_e32 vcc, 0, v1
	s_mov_b64 s[22:23], -1
                                        ; implicit-def: $vgpr16_vgpr17
	s_and_saveexec_b64 s[44:45], vcc
	s_cbranch_execz .LBB6_309
; %bb.306:                              ;   in Loop: Header=BB6_49 Depth=1
	v_accvgpr_read_b32 v4, a10
	v_accvgpr_read_b32 v5, a11
	v_mad_u64_u32 v[18:19], s[22:23], v12, 24, v[4:5]
	v_mov_b32_e32 v4, v19
	v_mad_u64_u32 v[4:5], s[22:23], v15, 24, v[4:5]
	v_mov_b32_e32 v19, v4
	flat_load_dword v1, v[18:19]
	v_accvgpr_read_b32 v6, a12
	v_accvgpr_read_b32 v7, a13
                                        ; implicit-def: $vgpr16_vgpr17
	s_waitcnt vmcnt(0) lgkmcnt(0)
	v_cmp_ne_u32_e32 vcc, 1, v1
	v_cmp_eq_u32_e64 s[22:23], 1, v1
	s_and_saveexec_b64 s[46:47], s[22:23]
	s_cbranch_execz .LBB6_308
; %bb.307:                              ;   in Loop: Header=BB6_49 Depth=1
	flat_load_dword v4, v[18:19] offset:4 glc
	s_waitcnt vmcnt(0) lgkmcnt(0)
	v_ashrrev_i32_e32 v5, 31, v4
	v_lshrrev_b64 v[16:17], 1, v[4:5]
.LBB6_308:                              ;   in Loop: Header=BB6_49 Depth=1
	s_or_b64 exec, exec, s[46:47]
	s_orn2_b64 s[22:23], vcc, exec
.LBB6_309:                              ;   in Loop: Header=BB6_49 Depth=1
	s_or_b64 exec, exec, s[44:45]
	s_and_saveexec_b64 vcc, s[22:23]
; %bb.310:                              ;   in Loop: Header=BB6_49 Depth=1
	v_accvgpr_read_b32 v4, a14
	v_mul_lo_u32 v1, v15, v4
	v_mul_lo_u32 v3, v12, v57
	v_mad_u64_u32 v[16:17], s[22:23], v12, v4, 0
	v_add3_u32 v17, v17, v3, v1
; %bb.311:                              ;   in Loop: Header=BB6_49 Depth=1
	s_or_b64 exec, exec, vcc
	v_lshlrev_b64 v[4:5], 1, v[16:17]
	v_add_co_u32_e32 v4, vcc, v34, v4
	v_addc_co_u32_e32 v5, vcc, v35, v5, vcc
	v_and_b32_e32 v1, 0x2000, v54
	v_cmp_ne_u32_e32 vcc, 0, v1
	s_trap 2
	ds_write_b64 v0, v[4:5]
	s_and_saveexec_b64 s[22:23], vcc
	s_cbranch_execz .LBB6_313
; %bb.312:                              ;   in Loop: Header=BB6_49 Depth=1
	ds_read_b64 v[4:5], v0 offset:584
	s_waitcnt lgkmcnt(0)
	v_add_co_u32_e32 v4, vcc, 1, v4
	v_addc_co_u32_e32 v5, vcc, 0, v5, vcc
	ds_write_b64 v0, v[4:5] offset:584
.LBB6_313:                              ;   in Loop: Header=BB6_49 Depth=1
	s_or_b64 exec, exec, s[22:23]
	v_accvgpr_read_b32 v4, a10
	v_accvgpr_read_b32 v6, a12
	;; [unrolled: 1-line block ×3, first 2 shown]
	v_add_co_u32_e32 v6, vcc, 1, v6
	v_addc_co_u32_e32 v7, vcc, 0, v7, vcc
	v_accvgpr_read_b32 v5, a11
	v_accvgpr_write_b32 a13, v7
	v_accvgpr_write_b32 a12, v6
	;; [unrolled: 1-line block ×4, first 2 shown]
.LBB6_314:                              ;   in Loop: Header=BB6_49 Depth=1
	s_or_b64 exec, exec, s[40:41]
	s_and_saveexec_b64 s[22:23], s[12:13]
	s_cbranch_execz .LBB6_333
; %bb.315:                              ;   in Loop: Header=BB6_49 Depth=1
	s_and_saveexec_b64 vcc, s[34:35]
	s_xor_b64 s[40:41], exec, vcc
	s_cbranch_execz .LBB6_330
; %bb.316:                              ;   in Loop: Header=BB6_49 Depth=1
	s_and_saveexec_b64 s[44:45], s[14:15]
	s_cbranch_execz .LBB6_329
; %bb.317:                              ;   in Loop: Header=BB6_49 Depth=1
	s_mov_b64 s[48:49], exec
	v_mbcnt_lo_u32_b32 v1, s48, 0
	v_mbcnt_hi_u32_b32 v1, s49, v1
	v_cmp_eq_u32_e32 vcc, 0, v1
	s_waitcnt vmcnt(0) lgkmcnt(0)
	buffer_wbinvl1_vol
	s_and_saveexec_b64 s[46:47], vcc
	s_cbranch_execz .LBB6_319
; %bb.318:                              ;   in Loop: Header=BB6_49 Depth=1
	s_bcnt1_i32_b64 vcc_lo, s[48:49]
	v_mov_b32_e32 v4, vcc_lo
	v_mov_b32_e32 v5, v40
	ds_add_u64 v0, v[4:5]
	s_trap 2
.LBB6_319:                              ;   in Loop: Header=BB6_49 Depth=1
	s_or_b64 exec, exec, s[46:47]
	s_trap 2
	ds_read_b64 v[4:5], v0
	v_add_co_u32_e32 v38, vcc, v38, v30
	v_addc_co_u32_e32 v39, vcc, 0, v39, vcc
	s_waitcnt lgkmcnt(0)
	v_cmp_lt_u64_e32 vcc, v[4:5], v[38:39]
	s_and_saveexec_b64 s[46:47], vcc
	s_cbranch_execz .LBB6_328
; %bb.320:                              ;   in Loop: Header=BB6_49 Depth=1
	s_mov_b32 s58, 0
	s_mov_b64 s[48:49], 0
                                        ; implicit-def: $sgpr50_sgpr51
                                        ; implicit-def: $sgpr52_sgpr53
	s_branch .LBB6_322
.LBB6_321:                              ;   in Loop: Header=BB6_322 Depth=2
	s_or_b64 exec, exec, s[56:57]
	s_and_b64 vcc, exec, vcc
	s_or_b64 s[48:49], vcc, s[48:49]
	s_andn2_b64 vcc, s[50:51], exec
	s_and_b64 s[50:51], s[52:53], exec
	s_or_b64 s[50:51], vcc, s[50:51]
	s_andn2_b64 exec, exec, s[48:49]
	s_cbranch_execz .LBB6_326
.LBB6_322:                              ;   Parent Loop BB6_49 Depth=1
                                        ; =>  This Inner Loop Header: Depth=2
	s_add_i32 s58, s58, 1
	s_cmpk_lg_i32 s58, 0x2710
	s_cselect_b64 s[54:55], -1, 0
	s_and_b64 vcc, exec, s[54:55]
                                        ; implicit-def: $sgpr56_sgpr57
	s_cbranch_vccnz .LBB6_324
; %bb.323:                              ;   in Loop: Header=BB6_322 Depth=2
	s_trap 2
	ds_read_b64 v[4:5], v0
	s_andn2_b64 s[54:55], s[54:55], exec
	s_mov_b32 s58, 0
	s_mov_b64 s[56:57], -1
	s_waitcnt lgkmcnt(0)
	flat_load_dword v1, v[4:5] glc
	s_waitcnt vmcnt(0) lgkmcnt(0)
	buffer_invl2
	buffer_wbinvl1_vol
	v_cmp_eq_u32_e32 vcc, 0, v1
	s_and_b64 vcc, vcc, exec
	s_or_b64 s[54:55], s[54:55], vcc
.LBB6_324:                              ;   in Loop: Header=BB6_322 Depth=2
	s_andn2_b64 s[52:53], s[52:53], exec
	s_and_b64 s[56:57], s[56:57], exec
	s_mov_b64 vcc, -1
	s_or_b64 s[52:53], s[52:53], s[56:57]
	s_and_saveexec_b64 s[56:57], s[54:55]
	s_cbranch_execz .LBB6_321
; %bb.325:                              ;   in Loop: Header=BB6_322 Depth=2
	s_sleep 1
	s_trap 2
	ds_read_b64 v[4:5], v0
	s_andn2_b64 s[52:53], s[52:53], exec
	s_waitcnt lgkmcnt(0)
	v_cmp_ge_u64_e32 vcc, v[4:5], v[38:39]
	s_orn2_b64 vcc, vcc, exec
	s_branch .LBB6_321
.LBB6_326:                              ;   in Loop: Header=BB6_49 Depth=1
	s_or_b64 exec, exec, s[48:49]
	s_and_saveexec_b64 vcc, s[50:51]
	s_xor_b64 vcc, exec, vcc
	s_cbranch_execz .LBB6_328
; %bb.327:                              ;   in Loop: Header=BB6_49 Depth=1
	ds_write_b32 v0, v21
	s_trap 2
.LBB6_328:                              ;   in Loop: Header=BB6_49 Depth=1
	s_or_b64 exec, exec, s[46:47]
	;;#ASMSTART
	s_wakeup
	;;#ASMEND
.LBB6_329:                              ;   in Loop: Header=BB6_49 Depth=1
	s_or_b64 exec, exec, s[44:45]
.LBB6_330:                              ;   in Loop: Header=BB6_49 Depth=1
	s_andn2_saveexec_b64 vcc, s[40:41]
	s_cbranch_execz .LBB6_332
; %bb.331:                              ;   in Loop: Header=BB6_49 Depth=1
	s_waitcnt vmcnt(0) lgkmcnt(0)
	buffer_wbinvl1_vol
	s_barrier
.LBB6_332:                              ;   in Loop: Header=BB6_49 Depth=1
	s_or_b64 exec, exec, vcc
.LBB6_333:                              ;   in Loop: Header=BB6_49 Depth=1
	s_or_b64 exec, exec, s[22:23]
	s_trap 2
	ds_read_b32 v3, v0
	v_cmp_lt_i32_e32 vcc, 0, v10
	v_and_b32_e32 v1, 16, v54
	s_waitcnt lgkmcnt(0)
	v_readfirstlane_b32 s22, v3
	s_cmp_eq_u32 s22, 0
	s_cselect_b64 s[22:23], -1, 0
	s_and_b64 s[22:23], vcc, s[22:23]
	v_cmp_ne_u32_e32 vcc, 0, v1
	s_and_b64 vcc, vcc, s[22:23]
	s_and_saveexec_b64 s[22:23], vcc
	s_cbranch_execz .LBB6_335
; %bb.334:                              ;   in Loop: Header=BB6_49 Depth=1
	s_waitcnt vmcnt(0)
	buffer_wbinvl1_vol
.LBB6_335:                              ;   in Loop: Header=BB6_49 Depth=1
	s_or_b64 exec, exec, s[22:23]
	v_cmp_ne_u32_e32 vcc, 0, v1
	s_xor_b64 s[22:23], s[20:21], -1
	s_and_b64 vcc, vcc, s[22:23]
	s_and_saveexec_b64 s[22:23], vcc
	s_cbranch_execz .LBB6_337
; %bb.336:                              ;   in Loop: Header=BB6_49 Depth=1
	v_accvgpr_read_b32 v4, a16
	v_accvgpr_read_b32 v5, a17
	flat_store_dword v[4:5], v21
.LBB6_337:                              ;   in Loop: Header=BB6_49 Depth=1
	s_or_b64 exec, exec, s[22:23]
	v_and_b32_e32 v1, 48, v54
	v_cmp_ne_u32_e32 vcc, 0, v1
	s_and_saveexec_b64 s[22:23], vcc
	s_cbranch_execz .LBB6_47
; %bb.338:                              ;   in Loop: Header=BB6_49 Depth=1
	v_accvgpr_read_b32 v4, a10
	v_accvgpr_read_b32 v6, a12
	v_accvgpr_read_b32 v7, a13
	v_add_co_u32_e32 v6, vcc, 1, v6
	v_addc_co_u32_e32 v7, vcc, 0, v7, vcc
	v_accvgpr_read_b32 v5, a11
	v_accvgpr_write_b32 a13, v7
	v_accvgpr_write_b32 a12, v6
	;; [unrolled: 1-line block ×4, first 2 shown]
	flat_store_dwordx2 v[32:33], v[6:7]
	s_branch .LBB6_47
.LBB6_339:
	s_or_b64 exec, exec, s[36:37]
	v_accvgpr_read_b32 v6, a10
	v_accvgpr_read_b32 v56, a0
	;; [unrolled: 1-line block ×7, first 2 shown]
.LBB6_340:
	s_or_b64 exec, exec, s[30:31]
                                        ; implicit-def: $vgpr52_vgpr53
                                        ; implicit-def: $vgpr44_vgpr45
                                        ; implicit-def: $agpr14
                                        ; implicit-def: $vgpr36_vgpr37
                                        ; implicit-def: $vgpr34_vgpr35
                                        ; implicit-def: $vgpr32_vgpr33
                                        ; implicit-def: $vgpr0
                                        ; implicit-def: $vgpr15
                                        ; implicit-def: $vgpr48_vgpr49
.LBB6_341:
	s_andn2_saveexec_b64 s[20:21], s[28:29]
	s_cbranch_execz .LBB6_626
; %bb.342:
	v_pk_mov_b32 v[38:39], 0, 0
	s_and_saveexec_b64 s[22:23], s[6:7]
	s_cbranch_execz .LBB6_625
; %bb.343:
	v_and_b32_e32 v1, 63, v31
	v_cmp_eq_u32_e64 s[12:13], 0, v1
	v_ashrrev_i32_e32 v1, 31, v0
	v_lshrrev_b32_e32 v1, 26, v1
	v_add_u32_e32 v1, v0, v1
	v_ashrrev_i32_e32 v57, 6, v1
	v_and_b32_e32 v1, 0xffffffc0, v1
	v_sub_u32_e32 v2, v0, v1
	v_lshlrev_b32_e32 v1, 11, v57
	v_cmp_le_i32_e64 s[14:15], v2, v15
	v_cmp_gt_i32_e64 s[16:17], 1, v2
	v_accvgpr_write_b32 a15, v2
	v_lshl_add_u32 v2, v2, 4, v1
	v_ashrrev_i32_e32 v1, 31, v2
	v_lshrrev_b32_e32 v30, 6, v56
	s_waitcnt vmcnt(0) lgkmcnt(0)
	v_accvgpr_write_b32 a17, v1
	v_mov_b32_e32 v1, 0xfffff800
	v_lshl_add_u32 v1, v30, 11, v1
	s_movk_i32 s18, 0x800
	v_accvgpr_write_b32 a16, v2
	v_ashrrev_i32_e32 v2, 31, v1
	v_add_co_u32_e64 v27, s[18:19], s18, v1
	v_accvgpr_write_b32 a1, v31
	v_addc_co_u32_e64 v31, s[18:19], 0, v2, s[18:19]
	v_lshlrev_b32_e32 v1, 10, v30
	v_accvgpr_write_b32 a18, v1
	v_add_u32_e32 v1, 0xfffffc00, v1
	s_movk_i32 s18, 0x400
	v_ashrrev_i32_e32 v2, 31, v1
	v_add_co_u32_e64 v62, s[18:19], s18, v1
	v_addc_co_u32_e64 v26, s[18:19], 0, v2, s[18:19]
	v_mov_b32_e32 v1, 0xfffffe00
	v_lshl_add_u32 v1, v30, 9, v1
	s_movk_i32 s18, 0x200
	v_accvgpr_write_b32 a8, v60
	v_ashrrev_i32_e32 v2, 31, v1
	v_add_co_u32_e64 v55, s[18:19], s18, v1
	v_accvgpr_write_b32 a9, v61
	v_addc_co_u32_e64 v60, s[18:19], 0, v2, s[18:19]
	v_lshlrev_b32_e32 v46, 7, v30
	s_lshr_b32 s6, s62, 27
	v_add_u32_e32 v1, 0xffffff80, v46
	s_movk_i32 s18, 0x80
	v_accvgpr_write_b32 a13, v9
	s_add_i32 s6, s62, s6
	v_cmp_eq_u32_e32 vcc, 64, v56
	v_ashrrev_i32_e32 v2, 31, v1
	v_add_co_u32_e64 v61, s[18:19], s18, v1
	v_pk_mov_b32 v[40:41], 0, 0
	v_accvgpr_write_b32 a4, v44
	v_accvgpr_write_b32 a12, v8
	;; [unrolled: 1-line block ×4, first 2 shown]
	s_ashr_i32 s58, s6, 5
	v_cmp_ge_i32_e64 s[6:7], v0, v56
	v_cmp_ne_u32_e64 s[10:11], 64, v56
	v_accvgpr_write_b32 a2, v58
	v_cmp_ne_u32_sdwa s[28:29], v58, v56 src0_sel:WORD_0 src1_sel:DWORD
	v_accvgpr_write_b32 a0, v56
	v_mov_b32_e32 v51, 0
	v_addc_co_u32_e64 v2, s[18:19], 0, v2, s[18:19]
	s_mov_b64 s[30:31], 0
	s_movk_i32 s59, 0x270e
	s_xor_b64 s[34:35], vcc, -1
	s_mov_b32 s60, 0x7f800000
	s_movk_i32 s61, 0x7fff
	s_mov_b32 s63, 0xffff0000
	v_pk_mov_b32 v[38:39], v[40:41], v[40:41] op_sel:[0,1]
	v_accvgpr_write_b32 a5, v45
	v_accvgpr_write_b32 a19, v46
	s_trap 2
	s_branch .LBB6_346
.LBB6_344:                              ;   in Loop: Header=BB6_346 Depth=1
	s_or_b64 exec, exec, s[18:19]
.LBB6_345:                              ;   in Loop: Header=BB6_346 Depth=1
	s_or_b64 exec, exec, s[38:39]
	v_add_co_u32_e32 v40, vcc, v40, v48
	v_addc_co_u32_e32 v41, vcc, 0, v41, vcc
	v_cmp_ge_u64_e32 vcc, v[40:41], v[44:45]
	s_or_b64 s[30:31], vcc, s[30:31]
	s_andn2_b64 exec, exec, s[30:31]
	s_cbranch_execz .LBB6_624
.LBB6_346:                              ; =>This Loop Header: Depth=1
                                        ;     Child Loop BB6_357 Depth 2
                                        ;     Child Loop BB6_379 Depth 2
	;; [unrolled: 1-line block ×10, first 2 shown]
	v_sub_co_u32_e32 v4, vcc, v44, v40
	v_subb_co_u32_e32 v5, vcc, v45, v41, vcc
	v_cmp_lt_u64_e32 vcc, v[48:49], v[4:5]
	v_cndmask_b32_e64 v43, v5, 0, vcc
	v_cndmask_b32_e32 v42, v4, v48, vcc
	v_add_u32_e32 v1, 15, v42
	v_cmp_eq_u64_e32 vcc, 0, v[42:43]
	v_and_b32_e32 v1, 0x3ffffff0, v1
	s_or_b64 s[36:37], s[6:7], vcc
	v_max_i32_e32 v28, s58, v1
	s_xor_b64 s[18:19], s[36:37], -1
	v_mov_b32_e32 v1, 0
	s_and_saveexec_b64 s[38:39], s[18:19]
	s_cbranch_execz .LBB6_578
; %bb.347:                              ;   in Loop: Header=BB6_346 Depth=1
	s_and_saveexec_b64 s[18:19], s[4:5]
	s_cbranch_execz .LBB6_349
; %bb.348:                              ;   in Loop: Header=BB6_346 Depth=1
	s_trap 2
	ds_read2_b64 v[10:13], v0 offset1:1
	ds_read_b64 v[6:7], v0
	v_add_co_u32_e32 v4, vcc, v40, v52
	v_addc_co_u32_e32 v5, vcc, v41, v53, vcc
	v_lshlrev_b64 v[4:5], 1, v[4:5]
	s_waitcnt lgkmcnt(0)
	v_add_co_u32_e32 v8, vcc, v10, v4
	v_addc_co_u32_e32 v9, vcc, v11, v5, vcc
	ds_write_b64 v0, v[8:9]
	v_add_co_u32_e32 v8, vcc, v12, v4
	v_addc_co_u32_e32 v9, vcc, v13, v5, vcc
	s_waitcnt lgkmcnt(1)
	v_add_co_u32_e32 v1, vcc, v6, v4
	v_addc_co_u32_e32 v3, vcc, v7, v5, vcc
	v_cmp_ne_u64_e32 vcc, 0, v[6:7]
	v_cndmask_b32_e32 v5, 0, v3, vcc
	v_cndmask_b32_e32 v4, 0, v1, vcc
	ds_write_b64 v0, v[8:9]
	ds_write_b64 v0, v[4:5]
.LBB6_349:                              ;   in Loop: Header=BB6_346 Depth=1
	s_or_b64 exec, exec, s[18:19]
	v_and_b32_e32 v1, 4, v54
	v_cmp_ne_u32_e32 vcc, 0, v1
	s_mov_b64 s[40:41], -1
	s_and_saveexec_b64 s[18:19], vcc
	s_cbranch_execnz .LBB6_352
; %bb.350:                              ;   in Loop: Header=BB6_346 Depth=1
	s_or_b64 exec, exec, s[18:19]
	s_xor_b64 s[18:19], s[40:41], -1
	s_and_saveexec_b64 s[40:41], s[18:19]
	s_cbranch_execnz .LBB6_363
.LBB6_351:                              ;   in Loop: Header=BB6_346 Depth=1
	s_or_b64 exec, exec, s[40:41]
	s_and_saveexec_b64 s[18:19], s[10:11]
	s_cbranch_execnz .LBB6_372
	s_branch .LBB6_390
.LBB6_352:                              ;   in Loop: Header=BB6_346 Depth=1
	v_accvgpr_read_b32 v4, a10
	v_accvgpr_read_b32 v6, a12
	;; [unrolled: 1-line block ×3, first 2 shown]
	v_add_co_u32_e32 v10, vcc, 1, v6
	v_addc_co_u32_e32 v11, vcc, 0, v7, vcc
	v_cmp_lt_u64_e32 vcc, v[36:37], v[10:11]
	v_mov_b32_e32 v1, 1
	v_accvgpr_read_b32 v5, a11
	s_and_saveexec_b64 s[40:41], vcc
	s_cbranch_execz .LBB6_362
; %bb.353:                              ;   in Loop: Header=BB6_346 Depth=1
	s_mov_b64 s[42:43], 0
	v_mov_b32_e32 v1, 0
                                        ; implicit-def: $sgpr44_sgpr45
	s_branch .LBB6_357
.LBB6_354:                              ;   in Loop: Header=BB6_357 Depth=2
	s_or_b64 exec, exec, s[52:53]
	v_mov_b32_e32 v3, 0
	s_orn2_b64 s[50:51], s[50:51], exec
.LBB6_355:                              ;   in Loop: Header=BB6_357 Depth=2
	s_or_b64 exec, exec, s[48:49]
	s_andn2_b64 vcc, s[44:45], exec
	s_and_b64 s[44:45], s[50:51], exec
	s_or_b64 s[44:45], vcc, s[44:45]
	v_mov_b32_e32 v1, v3
.LBB6_356:                              ;   in Loop: Header=BB6_357 Depth=2
	s_or_b64 exec, exec, s[46:47]
	s_waitcnt vmcnt(0) lgkmcnt(0)
	v_cmp_ge_u64_e32 vcc, v[36:37], v[10:11]
	s_xor_b64 s[46:47], s[44:45], -1
	s_or_b64 vcc, s[46:47], vcc
	s_and_b64 vcc, exec, vcc
	s_or_b64 s[42:43], vcc, s[42:43]
	s_andn2_b64 exec, exec, s[42:43]
	s_cbranch_execz .LBB6_361
.LBB6_357:                              ;   Parent Loop BB6_346 Depth=1
                                        ; =>  This Inner Loop Header: Depth=2
	s_sleep 1
	flat_load_dwordx2 v[36:37], v[32:33] glc
	v_and_b32_e32 v3, 64, v54
	v_cmp_eq_u32_e32 vcc, 0, v3
	s_andn2_b64 s[44:45], s[44:45], exec
	s_and_saveexec_b64 s[46:47], vcc
	s_cbranch_execz .LBB6_356
; %bb.358:                              ;   in Loop: Header=BB6_357 Depth=2
	v_add_u32_e32 v3, 1, v1
	v_cmp_lt_i32_e32 vcc, s59, v1
	s_mov_b64 s[50:51], -1
	s_and_saveexec_b64 s[48:49], vcc
	s_cbranch_execz .LBB6_355
; %bb.359:                              ;   in Loop: Header=BB6_357 Depth=2
	s_trap 2
	ds_read_b64 v[4:5], v0
	s_waitcnt vmcnt(0) lgkmcnt(0)
	flat_load_dword v1, v[4:5] glc
	s_waitcnt vmcnt(0) lgkmcnt(0)
	buffer_invl2
	buffer_wbinvl1_vol
	v_cmp_ne_u32_e32 vcc, 0, v1
	s_and_saveexec_b64 s[52:53], vcc
	s_cbranch_execz .LBB6_354
; %bb.360:                              ;   in Loop: Header=BB6_357 Depth=2
	v_or_b32_e32 v54, 64, v54
	s_xor_b64 s[50:51], exec, -1
	ds_write_b32 v0, v1
	s_trap 2
	s_branch .LBB6_354
.LBB6_361:                              ;   in Loop: Header=BB6_346 Depth=1
	s_or_b64 exec, exec, s[42:43]
	v_and_b32_e32 v1, 4, v54
.LBB6_362:                              ;   in Loop: Header=BB6_346 Depth=1
	s_or_b64 exec, exec, s[40:41]
	v_cmp_eq_u32_e32 vcc, 0, v1
	s_orn2_b64 s[40:41], vcc, exec
	;;#ASMSTART
	s_wakeup
	;;#ASMEND
	s_or_b64 exec, exec, s[18:19]
	s_xor_b64 s[18:19], s[40:41], -1
	s_and_saveexec_b64 s[40:41], s[18:19]
	s_cbranch_execz .LBB6_351
.LBB6_363:                              ;   in Loop: Header=BB6_346 Depth=1
	v_accvgpr_read_b32 v4, a10
	v_and_b32_e32 v1, 0x100, v54
	v_accvgpr_read_b32 v6, a12
	v_cmp_ne_u32_e32 vcc, 0, v1
	v_and_b32_e32 v1, 7, v6
	s_mov_b64 s[18:19], -1
	v_accvgpr_read_b32 v5, a11
	v_accvgpr_read_b32 v7, a13
                                        ; implicit-def: $vgpr10_vgpr11
	s_and_saveexec_b64 s[42:43], vcc
	s_cbranch_execz .LBB6_367
; %bb.364:                              ;   in Loop: Header=BB6_346 Depth=1
	v_accvgpr_read_b32 v4, a10
	v_accvgpr_read_b32 v5, a11
	v_mad_u64_u32 v[12:13], s[18:19], v1, 24, v[4:5]
	flat_load_dword v3, v[12:13]
	v_accvgpr_read_b32 v6, a12
	v_accvgpr_read_b32 v7, a13
                                        ; implicit-def: $vgpr10_vgpr11
	s_waitcnt vmcnt(0) lgkmcnt(0)
	v_cmp_ne_u32_e32 vcc, 1, v3
	v_cmp_eq_u32_e64 s[18:19], 1, v3
	s_and_saveexec_b64 s[44:45], s[18:19]
	s_cbranch_execz .LBB6_366
; %bb.365:                              ;   in Loop: Header=BB6_346 Depth=1
	flat_load_dword v4, v[12:13] offset:4 glc
	s_waitcnt vmcnt(0) lgkmcnt(0)
	v_ashrrev_i32_e32 v5, 31, v4
	v_lshrrev_b64 v[10:11], 1, v[4:5]
.LBB6_366:                              ;   in Loop: Header=BB6_346 Depth=1
	s_or_b64 exec, exec, s[44:45]
	s_orn2_b64 s[18:19], vcc, exec
.LBB6_367:                              ;   in Loop: Header=BB6_346 Depth=1
	s_or_b64 exec, exec, s[42:43]
	s_and_saveexec_b64 vcc, s[18:19]
; %bb.368:                              ;   in Loop: Header=BB6_346 Depth=1
	v_accvgpr_read_b32 v4, a14
	v_mad_i64_i32 v[10:11], s[18:19], v1, v4, 0
; %bb.369:                              ;   in Loop: Header=BB6_346 Depth=1
	s_or_b64 exec, exec, vcc
	v_lshlrev_b64 v[4:5], 1, v[10:11]
	v_add_co_u32_e32 v4, vcc, v34, v4
	v_addc_co_u32_e32 v5, vcc, v35, v5, vcc
	v_and_b32_e32 v1, 0x2000, v54
	v_cmp_ne_u32_e32 vcc, 0, v1
	ds_write_b64 v0, v[4:5] offset:728
	s_and_saveexec_b64 s[18:19], vcc
	s_cbranch_execz .LBB6_371
; %bb.370:                              ;   in Loop: Header=BB6_346 Depth=1
	ds_read_b64 v[4:5], v0 offset:584
	s_waitcnt lgkmcnt(0)
	v_add_co_u32_e32 v4, vcc, 1, v4
	v_addc_co_u32_e32 v5, vcc, 0, v5, vcc
	ds_write_b64 v0, v[4:5] offset:584
.LBB6_371:                              ;   in Loop: Header=BB6_346 Depth=1
	s_or_b64 exec, exec, s[18:19]
	v_accvgpr_read_b32 v4, a10
	v_accvgpr_read_b32 v6, a12
	v_accvgpr_read_b32 v7, a13
	v_add_co_u32_e32 v6, vcc, 1, v6
	v_addc_co_u32_e32 v7, vcc, 0, v7, vcc
	v_accvgpr_read_b32 v5, a11
	v_accvgpr_write_b32 a13, v7
	v_accvgpr_write_b32 a12, v6
	;; [unrolled: 1-line block ×4, first 2 shown]
	s_or_b64 exec, exec, s[40:41]
	s_and_saveexec_b64 s[18:19], s[10:11]
	s_cbranch_execz .LBB6_390
.LBB6_372:                              ;   in Loop: Header=BB6_346 Depth=1
	s_and_saveexec_b64 vcc, s[28:29]
	s_xor_b64 s[40:41], exec, vcc
	s_cbranch_execz .LBB6_387
; %bb.373:                              ;   in Loop: Header=BB6_346 Depth=1
	s_and_saveexec_b64 s[42:43], s[12:13]
	s_cbranch_execz .LBB6_386
; %bb.374:                              ;   in Loop: Header=BB6_346 Depth=1
	s_mov_b64 s[46:47], exec
	v_mbcnt_lo_u32_b32 v1, s46, 0
	v_mbcnt_hi_u32_b32 v1, s47, v1
	v_cmp_eq_u32_e32 vcc, 0, v1
	s_waitcnt vmcnt(0) lgkmcnt(0)
	buffer_wbinvl1_vol
	s_and_saveexec_b64 s[44:45], vcc
	s_cbranch_execz .LBB6_376
; %bb.375:                              ;   in Loop: Header=BB6_346 Depth=1
	s_bcnt1_i32_b64 vcc_lo, s[46:47]
	v_mov_b32_e32 v50, vcc_lo
	ds_add_u64 v0, v[50:51]
	s_trap 2
.LBB6_376:                              ;   in Loop: Header=BB6_346 Depth=1
	s_or_b64 exec, exec, s[44:45]
	s_trap 2
	ds_read_b64 v[4:5], v0
	v_add_co_u32_e32 v38, vcc, v38, v30
	v_addc_co_u32_e32 v39, vcc, 0, v39, vcc
	s_waitcnt lgkmcnt(0)
	v_cmp_lt_u64_e32 vcc, v[4:5], v[38:39]
	s_and_saveexec_b64 s[44:45], vcc
	s_cbranch_execz .LBB6_385
; %bb.377:                              ;   in Loop: Header=BB6_346 Depth=1
	s_mov_b32 s56, 0
	s_mov_b64 s[46:47], 0
                                        ; implicit-def: $sgpr48_sgpr49
                                        ; implicit-def: $sgpr50_sgpr51
	s_branch .LBB6_379
.LBB6_378:                              ;   in Loop: Header=BB6_379 Depth=2
	s_or_b64 exec, exec, s[54:55]
	s_and_b64 vcc, exec, vcc
	s_or_b64 s[46:47], vcc, s[46:47]
	s_andn2_b64 vcc, s[48:49], exec
	s_and_b64 s[48:49], s[50:51], exec
	s_or_b64 s[48:49], vcc, s[48:49]
	s_andn2_b64 exec, exec, s[46:47]
	s_cbranch_execz .LBB6_383
.LBB6_379:                              ;   Parent Loop BB6_346 Depth=1
                                        ; =>  This Inner Loop Header: Depth=2
	s_add_i32 s56, s56, 1
	s_cmpk_lg_i32 s56, 0x2710
	s_cselect_b64 s[52:53], -1, 0
	s_and_b64 vcc, exec, s[52:53]
                                        ; implicit-def: $sgpr54_sgpr55
	s_cbranch_vccnz .LBB6_381
; %bb.380:                              ;   in Loop: Header=BB6_379 Depth=2
	s_trap 2
	ds_read_b64 v[4:5], v0
	s_andn2_b64 s[52:53], s[52:53], exec
	s_mov_b32 s56, 0
	s_mov_b64 s[54:55], -1
	s_waitcnt lgkmcnt(0)
	flat_load_dword v1, v[4:5] glc
	s_waitcnt vmcnt(0) lgkmcnt(0)
	buffer_invl2
	buffer_wbinvl1_vol
	v_cmp_eq_u32_e32 vcc, 0, v1
	s_and_b64 vcc, vcc, exec
	s_or_b64 s[52:53], s[52:53], vcc
.LBB6_381:                              ;   in Loop: Header=BB6_379 Depth=2
	s_andn2_b64 s[50:51], s[50:51], exec
	s_and_b64 s[54:55], s[54:55], exec
	s_mov_b64 vcc, -1
	s_or_b64 s[50:51], s[50:51], s[54:55]
	s_and_saveexec_b64 s[54:55], s[52:53]
	s_cbranch_execz .LBB6_378
; %bb.382:                              ;   in Loop: Header=BB6_379 Depth=2
	s_sleep 1
	s_trap 2
	ds_read_b64 v[4:5], v0
	s_andn2_b64 s[50:51], s[50:51], exec
	s_waitcnt lgkmcnt(0)
	v_cmp_ge_u64_e32 vcc, v[4:5], v[38:39]
	s_orn2_b64 vcc, vcc, exec
	s_branch .LBB6_378
.LBB6_383:                              ;   in Loop: Header=BB6_346 Depth=1
	s_or_b64 exec, exec, s[46:47]
	s_and_saveexec_b64 vcc, s[48:49]
	s_xor_b64 vcc, exec, vcc
	s_cbranch_execz .LBB6_385
; %bb.384:                              ;   in Loop: Header=BB6_346 Depth=1
	v_mov_b32_e32 v1, 1
	ds_write_b32 v0, v1
	s_trap 2
.LBB6_385:                              ;   in Loop: Header=BB6_346 Depth=1
	s_or_b64 exec, exec, s[44:45]
	;;#ASMSTART
	s_wakeup
	;;#ASMEND
.LBB6_386:                              ;   in Loop: Header=BB6_346 Depth=1
	s_or_b64 exec, exec, s[42:43]
.LBB6_387:                              ;   in Loop: Header=BB6_346 Depth=1
	s_andn2_saveexec_b64 vcc, s[40:41]
	s_cbranch_execz .LBB6_389
; %bb.388:                              ;   in Loop: Header=BB6_346 Depth=1
	s_waitcnt vmcnt(0) lgkmcnt(0)
	buffer_wbinvl1_vol
	s_barrier
.LBB6_389:                              ;   in Loop: Header=BB6_346 Depth=1
	s_or_b64 exec, exec, vcc
.LBB6_390:                              ;   in Loop: Header=BB6_346 Depth=1
	s_or_b64 exec, exec, s[18:19]
	s_trap 2
	ds_read_b32 v1, v0
	v_and_b32_e32 v3, 0x4000, v54
	v_cmp_ne_u32_e32 vcc, 0, v3
	s_and_b64 vcc, s[34:35], vcc
	s_and_saveexec_b64 s[18:19], vcc
	s_cbranch_execz .LBB6_409
; %bb.391:                              ;   in Loop: Header=BB6_346 Depth=1
	s_and_saveexec_b64 vcc, s[28:29]
	s_xor_b64 s[40:41], exec, vcc
	s_cbranch_execz .LBB6_406
; %bb.392:                              ;   in Loop: Header=BB6_346 Depth=1
	s_and_saveexec_b64 s[42:43], s[12:13]
	s_cbranch_execz .LBB6_405
; %bb.393:                              ;   in Loop: Header=BB6_346 Depth=1
	s_mov_b64 s[46:47], exec
	v_mbcnt_lo_u32_b32 v3, s46, 0
	v_mbcnt_hi_u32_b32 v3, s47, v3
	v_cmp_eq_u32_e32 vcc, 0, v3
	s_waitcnt vmcnt(0) lgkmcnt(0)
	buffer_wbinvl1_vol
	s_and_saveexec_b64 s[44:45], vcc
	s_cbranch_execz .LBB6_395
; %bb.394:                              ;   in Loop: Header=BB6_346 Depth=1
	s_bcnt1_i32_b64 vcc_lo, s[46:47]
	v_mov_b32_e32 v50, vcc_lo
	ds_add_u64 v0, v[50:51]
	s_trap 2
.LBB6_395:                              ;   in Loop: Header=BB6_346 Depth=1
	s_or_b64 exec, exec, s[44:45]
	s_trap 2
	ds_read_b64 v[4:5], v0
	v_add_co_u32_e32 v38, vcc, v38, v30
	v_addc_co_u32_e32 v39, vcc, 0, v39, vcc
	s_waitcnt lgkmcnt(0)
	v_cmp_lt_u64_e32 vcc, v[4:5], v[38:39]
	s_and_saveexec_b64 s[44:45], vcc
	s_cbranch_execz .LBB6_404
; %bb.396:                              ;   in Loop: Header=BB6_346 Depth=1
	s_mov_b32 s56, 0
	s_mov_b64 s[46:47], 0
                                        ; implicit-def: $sgpr48_sgpr49
                                        ; implicit-def: $sgpr50_sgpr51
	s_branch .LBB6_398
.LBB6_397:                              ;   in Loop: Header=BB6_398 Depth=2
	s_or_b64 exec, exec, s[54:55]
	s_and_b64 vcc, exec, vcc
	s_or_b64 s[46:47], vcc, s[46:47]
	s_andn2_b64 vcc, s[48:49], exec
	s_and_b64 s[48:49], s[50:51], exec
	s_or_b64 s[48:49], vcc, s[48:49]
	s_andn2_b64 exec, exec, s[46:47]
	s_cbranch_execz .LBB6_402
.LBB6_398:                              ;   Parent Loop BB6_346 Depth=1
                                        ; =>  This Inner Loop Header: Depth=2
	s_add_i32 s56, s56, 1
	s_cmpk_lg_i32 s56, 0x2710
	s_cselect_b64 s[52:53], -1, 0
	s_and_b64 vcc, exec, s[52:53]
                                        ; implicit-def: $sgpr54_sgpr55
	s_cbranch_vccnz .LBB6_400
; %bb.399:                              ;   in Loop: Header=BB6_398 Depth=2
	s_trap 2
	ds_read_b64 v[4:5], v0
	s_andn2_b64 s[52:53], s[52:53], exec
	s_mov_b32 s56, 0
	s_mov_b64 s[54:55], -1
	s_waitcnt lgkmcnt(0)
	flat_load_dword v3, v[4:5] glc
	s_waitcnt vmcnt(0) lgkmcnt(0)
	buffer_invl2
	buffer_wbinvl1_vol
	v_cmp_eq_u32_e32 vcc, 0, v3
	s_and_b64 vcc, vcc, exec
	s_or_b64 s[52:53], s[52:53], vcc
.LBB6_400:                              ;   in Loop: Header=BB6_398 Depth=2
	s_andn2_b64 s[50:51], s[50:51], exec
	s_and_b64 s[54:55], s[54:55], exec
	s_mov_b64 vcc, -1
	s_or_b64 s[50:51], s[50:51], s[54:55]
	s_and_saveexec_b64 s[54:55], s[52:53]
	s_cbranch_execz .LBB6_397
; %bb.401:                              ;   in Loop: Header=BB6_398 Depth=2
	s_sleep 1
	s_trap 2
	ds_read_b64 v[4:5], v0
	s_andn2_b64 s[50:51], s[50:51], exec
	s_waitcnt lgkmcnt(0)
	v_cmp_ge_u64_e32 vcc, v[4:5], v[38:39]
	s_orn2_b64 vcc, vcc, exec
	s_branch .LBB6_397
.LBB6_402:                              ;   in Loop: Header=BB6_346 Depth=1
	s_or_b64 exec, exec, s[46:47]
	s_and_saveexec_b64 vcc, s[48:49]
	s_xor_b64 vcc, exec, vcc
	s_cbranch_execz .LBB6_404
; %bb.403:                              ;   in Loop: Header=BB6_346 Depth=1
	v_mov_b32_e32 v3, 1
	ds_write_b32 v0, v3
	s_trap 2
.LBB6_404:                              ;   in Loop: Header=BB6_346 Depth=1
	s_or_b64 exec, exec, s[44:45]
	;;#ASMSTART
	s_wakeup
	;;#ASMEND
.LBB6_405:                              ;   in Loop: Header=BB6_346 Depth=1
	s_or_b64 exec, exec, s[42:43]
.LBB6_406:                              ;   in Loop: Header=BB6_346 Depth=1
	s_andn2_saveexec_b64 vcc, s[40:41]
	s_cbranch_execz .LBB6_408
; %bb.407:                              ;   in Loop: Header=BB6_346 Depth=1
	s_waitcnt vmcnt(0) lgkmcnt(0)
	buffer_wbinvl1_vol
	s_barrier
.LBB6_408:                              ;   in Loop: Header=BB6_346 Depth=1
	s_or_b64 exec, exec, vcc
.LBB6_409:                              ;   in Loop: Header=BB6_346 Depth=1
	s_or_b64 exec, exec, s[18:19]
	s_trap 2
	ds_read_b64 v[4:5], v0
	v_min_u32_e32 v28, v28, v42
	s_waitcnt lgkmcnt(0)
	v_readfirstlane_b32 s18, v4
	v_readfirstlane_b32 s19, v5
	s_cmp_eq_u64 s[18:19], 0
	s_cselect_b64 s[18:19], -1, 0
	s_or_b64 vcc, s[18:19], s[18:19]
	s_mov_b64 s[18:19], 0
	s_and_b64 vcc, exec, vcc
	s_cbranch_vccnz .LBB6_554
; %bb.410:                              ;   in Loop: Header=BB6_346 Depth=1
	s_mov_b64 s[18:19], -1
	s_and_saveexec_b64 s[40:41], s[14:15]
	s_cbranch_execz .LBB6_412
; %bb.411:                              ;   in Loop: Header=BB6_346 Depth=1
	ds_read_b32 v3, v0 offset:720
	s_waitcnt lgkmcnt(0)
	v_and_b32_e32 v3, 15, v3
	v_cmp_eq_u32_e32 vcc, 0, v3
	s_orn2_b64 s[18:19], vcc, exec
.LBB6_412:                              ;   in Loop: Header=BB6_346 Depth=1
	s_or_b64 exec, exec, s[40:41]
	s_and_saveexec_b64 s[40:41], s[16:17]
	s_cbranch_execz .LBB6_414
; %bb.413:                              ;   in Loop: Header=BB6_346 Depth=1
	ds_read_b32 v3, v0 offset:784
	s_waitcnt lgkmcnt(0)
	v_and_b32_e32 v3, 15, v3
	v_cmp_eq_u32_e32 vcc, 0, v3
	s_and_b64 vcc, s[18:19], vcc
	s_andn2_b64 s[18:19], s[18:19], exec
	s_and_b64 vcc, vcc, exec
	s_or_b64 s[18:19], s[18:19], vcc
.LBB6_414:                              ;   in Loop: Header=BB6_346 Depth=1
	s_or_b64 exec, exec, s[40:41]
	v_cmp_eq_u32_e32 vcc, 0, v1
	s_xor_b64 s[18:19], s[18:19], -1
	v_cndmask_b32_e32 v1, 0, v28, vcc
	v_cndmask_b32_e64 v4, 0, 1, s[18:19]
	v_mov_b32_e32 v3, 0
	v_lshlrev_b32_e32 v50, 1, v1
	s_mov_b64 s[42:43], -1
	;;#ASMSTART
	;;#ASMEND
	v_cmp_ne_u32_e32 vcc, 0, v4
	s_cbranch_vccz .LBB6_416
; %bb.415:                              ;   in Loop: Header=BB6_346 Depth=1
	v_mov_b32_e32 v18, v0
	v_mov_b32_e32 v10, v57
	s_and_saveexec_b64 s[18:19], s[42:43]
	s_cbranch_execnz .LBB6_525
	s_branch .LBB6_553
.LBB6_416:                              ;   in Loop: Header=BB6_346 Depth=1
	v_lshrrev_b32_e32 v3, 10, v1
	v_sub_u32_e32 v43, v3, v57
	v_cmp_lt_i32_e32 vcc, 0, v43
	s_and_saveexec_b64 s[18:19], vcc
	s_cbranch_execz .LBB6_484
; %bb.417:                              ;   in Loop: Header=BB6_346 Depth=1
	s_trap 2
	ds_read_b128 v[10:13], v0
	ds_read_b64 v[4:5], v0
	v_accvgpr_read_b32 v6, a16
	v_accvgpr_write_b32 a20, v3
	v_accvgpr_read_b32 v3, a17
	s_waitcnt lgkmcnt(0)
	v_add_co_u32_e32 v44, vcc, v10, v6
	v_addc_co_u32_e32 v45, vcc, v11, v3, vcc
	v_add_co_u32_e32 v46, vcc, v12, v6
	v_addc_co_u32_e32 v47, vcc, v13, v3, vcc
	s_waitcnt lgkmcnt(0)
	v_add_co_u32_e32 v56, vcc, v4, v6
	v_accvgpr_write_b32 a3, v57
	v_addc_co_u32_e32 v57, vcc, v5, v3, vcc
	s_mov_b64 s[40:41], 0
	s_branch .LBB6_419
.LBB6_418:                              ;   in Loop: Header=BB6_419 Depth=2
	s_or_b64 exec, exec, s[42:43]
	v_add_co_u32_e32 v44, vcc, v44, v27
	v_addc_co_u32_e32 v45, vcc, v45, v31, vcc
	v_lshrrev_b32_e32 v4, 16, v58
	v_add_co_u32_e32 v46, vcc, v46, v27
	v_and_or_b32 v5, v23, s63, v4
	v_lshrrev_b32_e32 v4, 16, v29
	v_lshrrev_b32_e32 v6, 16, v59
	;; [unrolled: 1-line block ×4, first 2 shown]
	v_addc_co_u32_e32 v47, vcc, v47, v31, vcc
	v_sub_u32_e32 v43, v43, v30
	v_and_or_b32 v4, v22, s63, v4
	v_and_or_b32 v6, v20, s63, v6
	;; [unrolled: 1-line block ×4, first 2 shown]
	v_lshrrev_b32_e32 v8, 16, v25
	v_lshrrev_b32_e32 v10, 16, v19
	v_lshrrev_b32_e32 v11, 16, v16
	v_cmp_gt_i32_e32 vcc, 1, v43
	v_and_or_b32 v8, v14, s63, v8
	v_and_or_b32 v10, v12, s63, v10
	;; [unrolled: 1-line block ×3, first 2 shown]
	global_store_dwordx4 v[56:57], v[4:7], off glc slc
	global_store_dwordx4 v[56:57], v[8:11], off offset:1024 glc slc
	s_or_b64 s[40:41], vcc, s[40:41]
	v_add_co_u32_e32 v56, vcc, v56, v27
	v_addc_co_u32_e32 v57, vcc, v57, v31, vcc
	s_andn2_b64 exec, exec, s[40:41]
	s_cbranch_execz .LBB6_483
.LBB6_419:                              ;   Parent Loop BB6_346 Depth=1
                                        ; =>  This Inner Loop Header: Depth=2
	global_load_dwordx4 v[18:21], v[46:47], off glc slc
	global_load_dwordx4 v[22:25], v[44:45], off glc slc
	global_load_dwordx4 v[14:17], v[44:45], off offset:1024 glc slc
	global_load_dwordx4 v[10:13], v[46:47], off offset:1024 glc slc
                                        ; implicit-def: $vgpr29
	s_waitcnt vmcnt(0)
	v_lshlrev_b32_e32 v4, 16, v18
	s_waitcnt vmcnt(2)
	v_lshlrev_b32_e32 v6, 16, v22
	v_pk_add_f32 v[58:59], v[4:5], v[6:7] op_sel_hi:[0,1]
	v_and_b32_e32 v3, 0x7f800000, v58
	v_cmp_ne_u32_e32 vcc, s60, v3
	s_and_saveexec_b64 s[42:43], vcc
	s_xor_b64 vcc, exec, s[42:43]
; %bb.420:                              ;   in Loop: Header=BB6_419 Depth=2
	v_bfe_u32 v3, v58, 16, 1
	v_add3_u32 v29, v58, v3, s61
                                        ; implicit-def: $vgpr58_vgpr59
; %bb.421:                              ;   in Loop: Header=BB6_419 Depth=2
	s_andn2_saveexec_b64 s[42:43], vcc
; %bb.422:                              ;   in Loop: Header=BB6_419 Depth=2
	v_or_b32_e32 v3, 0x10000, v58
	v_cmp_eq_u32_sdwa vcc, v58, v51 src0_sel:WORD_0 src1_sel:DWORD
	v_cndmask_b32_e32 v29, v3, v58, vcc
; %bb.423:                              ;   in Loop: Header=BB6_419 Depth=2
	s_or_b64 exec, exec, s[42:43]
	v_and_b32_e32 v4, 0xffff0000, v18
	v_and_b32_e32 v6, 0xffff0000, v22
	v_pk_add_f32 v[58:59], v[4:5], v[6:7] op_sel_hi:[0,1]
	v_and_b32_e32 v3, 0x7f800000, v58
	v_cmp_ne_u32_e32 vcc, s60, v3
                                        ; implicit-def: $vgpr22
	s_and_saveexec_b64 s[42:43], vcc
	s_xor_b64 vcc, exec, s[42:43]
; %bb.424:                              ;   in Loop: Header=BB6_419 Depth=2
	v_bfe_u32 v3, v58, 16, 1
	v_add3_u32 v22, v58, v3, s61
                                        ; implicit-def: $vgpr58_vgpr59
; %bb.425:                              ;   in Loop: Header=BB6_419 Depth=2
	s_andn2_saveexec_b64 s[42:43], vcc
; %bb.426:                              ;   in Loop: Header=BB6_419 Depth=2
	v_or_b32_e32 v3, 0x10000, v58
	v_cmp_eq_u32_sdwa vcc, v58, v51 src0_sel:WORD_0 src1_sel:DWORD
	v_cndmask_b32_e32 v22, v3, v58, vcc
; %bb.427:                              ;   in Loop: Header=BB6_419 Depth=2
	s_or_b64 exec, exec, s[42:43]
	v_mov_b32_e32 v3, v19
	v_lshlrev_b32_e32 v4, 16, v3
	v_lshlrev_b32_e32 v6, 16, v23
	v_pk_add_f32 v[18:19], v[4:5], v[6:7] op_sel_hi:[0,1]
	v_and_b32_e32 v4, 0x7f800000, v18
	v_cmp_ne_u32_e32 vcc, s60, v4
                                        ; implicit-def: $vgpr58
	s_and_saveexec_b64 s[42:43], vcc
	s_xor_b64 vcc, exec, s[42:43]
; %bb.428:                              ;   in Loop: Header=BB6_419 Depth=2
	v_bfe_u32 v4, v18, 16, 1
	v_add3_u32 v58, v18, v4, s61
                                        ; implicit-def: $vgpr18_vgpr19
; %bb.429:                              ;   in Loop: Header=BB6_419 Depth=2
	s_andn2_saveexec_b64 s[42:43], vcc
; %bb.430:                              ;   in Loop: Header=BB6_419 Depth=2
	v_or_b32_e32 v4, 0x10000, v18
	v_cmp_eq_u32_sdwa vcc, v18, v51 src0_sel:WORD_0 src1_sel:DWORD
	v_cndmask_b32_e32 v58, v4, v18, vcc
; %bb.431:                              ;   in Loop: Header=BB6_419 Depth=2
	s_or_b64 exec, exec, s[42:43]
	v_and_b32_e32 v4, 0xffff0000, v3
	v_and_b32_e32 v6, 0xffff0000, v23
	v_pk_add_f32 v[18:19], v[4:5], v[6:7] op_sel_hi:[0,1]
	v_and_b32_e32 v3, 0x7f800000, v18
	v_cmp_ne_u32_e32 vcc, s60, v3
                                        ; implicit-def: $vgpr23
	s_and_saveexec_b64 s[42:43], vcc
	s_xor_b64 vcc, exec, s[42:43]
; %bb.432:                              ;   in Loop: Header=BB6_419 Depth=2
	v_bfe_u32 v3, v18, 16, 1
	v_add3_u32 v23, v18, v3, s61
                                        ; implicit-def: $vgpr18_vgpr19
; %bb.433:                              ;   in Loop: Header=BB6_419 Depth=2
	s_andn2_saveexec_b64 s[42:43], vcc
; %bb.434:                              ;   in Loop: Header=BB6_419 Depth=2
	v_or_b32_e32 v3, 0x10000, v18
	v_cmp_eq_u32_sdwa vcc, v18, v51 src0_sel:WORD_0 src1_sel:DWORD
	v_cndmask_b32_e32 v23, v3, v18, vcc
; %bb.435:                              ;   in Loop: Header=BB6_419 Depth=2
	s_or_b64 exec, exec, s[42:43]
	v_lshlrev_b32_e32 v4, 16, v20
	v_lshlrev_b32_e32 v6, 16, v24
	v_pk_add_f32 v[18:19], v[4:5], v[6:7] op_sel_hi:[0,1]
	v_and_b32_e32 v3, 0x7f800000, v18
	v_cmp_ne_u32_e32 vcc, s60, v3
                                        ; implicit-def: $vgpr59
	s_and_saveexec_b64 s[42:43], vcc
	s_xor_b64 vcc, exec, s[42:43]
; %bb.436:                              ;   in Loop: Header=BB6_419 Depth=2
	v_bfe_u32 v3, v18, 16, 1
	v_add3_u32 v59, v18, v3, s61
                                        ; implicit-def: $vgpr18_vgpr19
; %bb.437:                              ;   in Loop: Header=BB6_419 Depth=2
	s_andn2_saveexec_b64 s[42:43], vcc
; %bb.438:                              ;   in Loop: Header=BB6_419 Depth=2
	v_or_b32_e32 v3, 0x10000, v18
	v_cmp_eq_u32_sdwa vcc, v18, v51 src0_sel:WORD_0 src1_sel:DWORD
	v_cndmask_b32_e32 v59, v3, v18, vcc
; %bb.439:                              ;   in Loop: Header=BB6_419 Depth=2
	s_or_b64 exec, exec, s[42:43]
	v_and_b32_e32 v4, 0xffff0000, v20
	v_and_b32_e32 v6, 0xffff0000, v24
	v_pk_add_f32 v[18:19], v[4:5], v[6:7] op_sel_hi:[0,1]
	v_and_b32_e32 v3, 0x7f800000, v18
	v_cmp_ne_u32_e32 vcc, s60, v3
                                        ; implicit-def: $vgpr20
	s_and_saveexec_b64 s[42:43], vcc
	s_xor_b64 vcc, exec, s[42:43]
; %bb.440:                              ;   in Loop: Header=BB6_419 Depth=2
	v_bfe_u32 v3, v18, 16, 1
	v_add3_u32 v20, v18, v3, s61
                                        ; implicit-def: $vgpr18_vgpr19
; %bb.441:                              ;   in Loop: Header=BB6_419 Depth=2
	s_andn2_saveexec_b64 s[42:43], vcc
; %bb.442:                              ;   in Loop: Header=BB6_419 Depth=2
	v_or_b32_e32 v3, 0x10000, v18
	v_cmp_eq_u32_sdwa vcc, v18, v51 src0_sel:WORD_0 src1_sel:DWORD
	v_cndmask_b32_e32 v20, v3, v18, vcc
; %bb.443:                              ;   in Loop: Header=BB6_419 Depth=2
	s_or_b64 exec, exec, s[42:43]
	v_mov_b32_e32 v3, v25
	v_lshlrev_b32_e32 v4, 16, v21
	v_lshlrev_b32_e32 v6, 16, v3
	v_pk_add_f32 v[18:19], v[4:5], v[6:7] op_sel_hi:[0,1]
	v_and_b32_e32 v4, 0x7f800000, v18
	v_cmp_ne_u32_e32 vcc, s60, v4
                                        ; implicit-def: $vgpr24
	s_and_saveexec_b64 s[42:43], vcc
	s_xor_b64 vcc, exec, s[42:43]
; %bb.444:                              ;   in Loop: Header=BB6_419 Depth=2
	v_bfe_u32 v4, v18, 16, 1
	v_add3_u32 v24, v18, v4, s61
                                        ; implicit-def: $vgpr18_vgpr19
; %bb.445:                              ;   in Loop: Header=BB6_419 Depth=2
	s_andn2_saveexec_b64 s[42:43], vcc
; %bb.446:                              ;   in Loop: Header=BB6_419 Depth=2
	v_or_b32_e32 v4, 0x10000, v18
	v_cmp_eq_u32_sdwa vcc, v18, v51 src0_sel:WORD_0 src1_sel:DWORD
	v_cndmask_b32_e32 v24, v4, v18, vcc
; %bb.447:                              ;   in Loop: Header=BB6_419 Depth=2
	s_or_b64 exec, exec, s[42:43]
	v_and_b32_e32 v4, 0xffff0000, v21
	v_and_b32_e32 v6, 0xffff0000, v3
	v_pk_add_f32 v[18:19], v[4:5], v[6:7] op_sel_hi:[0,1]
	v_and_b32_e32 v3, 0x7f800000, v18
	v_cmp_ne_u32_e32 vcc, s60, v3
                                        ; implicit-def: $vgpr21
	s_and_saveexec_b64 s[42:43], vcc
	s_xor_b64 vcc, exec, s[42:43]
; %bb.448:                              ;   in Loop: Header=BB6_419 Depth=2
	v_bfe_u32 v3, v18, 16, 1
	v_add3_u32 v21, v18, v3, s61
                                        ; implicit-def: $vgpr18_vgpr19
; %bb.449:                              ;   in Loop: Header=BB6_419 Depth=2
	s_andn2_saveexec_b64 s[42:43], vcc
; %bb.450:                              ;   in Loop: Header=BB6_419 Depth=2
	v_or_b32_e32 v3, 0x10000, v18
	v_cmp_eq_u32_sdwa vcc, v18, v51 src0_sel:WORD_0 src1_sel:DWORD
	v_cndmask_b32_e32 v21, v3, v18, vcc
; %bb.451:                              ;   in Loop: Header=BB6_419 Depth=2
	s_or_b64 exec, exec, s[42:43]
	s_waitcnt vmcnt(0)
	v_lshlrev_b32_e32 v4, 16, v10
	v_lshlrev_b32_e32 v6, 16, v14
	v_pk_add_f32 v[18:19], v[4:5], v[6:7] op_sel_hi:[0,1]
	v_and_b32_e32 v3, 0x7f800000, v18
	v_cmp_ne_u32_e32 vcc, s60, v3
                                        ; implicit-def: $vgpr25
	s_and_saveexec_b64 s[42:43], vcc
	s_xor_b64 vcc, exec, s[42:43]
; %bb.452:                              ;   in Loop: Header=BB6_419 Depth=2
	v_bfe_u32 v3, v18, 16, 1
	v_add3_u32 v25, v18, v3, s61
                                        ; implicit-def: $vgpr18_vgpr19
; %bb.453:                              ;   in Loop: Header=BB6_419 Depth=2
	s_andn2_saveexec_b64 s[42:43], vcc
; %bb.454:                              ;   in Loop: Header=BB6_419 Depth=2
	v_or_b32_e32 v3, 0x10000, v18
	v_cmp_eq_u32_sdwa vcc, v18, v51 src0_sel:WORD_0 src1_sel:DWORD
	v_cndmask_b32_e32 v25, v3, v18, vcc
; %bb.455:                              ;   in Loop: Header=BB6_419 Depth=2
	s_or_b64 exec, exec, s[42:43]
	v_and_b32_e32 v4, 0xffff0000, v10
	v_and_b32_e32 v6, 0xffff0000, v14
	v_pk_add_f32 v[18:19], v[4:5], v[6:7] op_sel_hi:[0,1]
	v_and_b32_e32 v3, 0x7f800000, v18
	v_cmp_ne_u32_e32 vcc, s60, v3
                                        ; implicit-def: $vgpr14
	s_and_saveexec_b64 s[42:43], vcc
	s_xor_b64 vcc, exec, s[42:43]
; %bb.456:                              ;   in Loop: Header=BB6_419 Depth=2
	v_bfe_u32 v3, v18, 16, 1
	v_add3_u32 v14, v18, v3, s61
                                        ; implicit-def: $vgpr18_vgpr19
; %bb.457:                              ;   in Loop: Header=BB6_419 Depth=2
	s_andn2_saveexec_b64 s[42:43], vcc
; %bb.458:                              ;   in Loop: Header=BB6_419 Depth=2
	v_or_b32_e32 v3, 0x10000, v18
	v_cmp_eq_u32_sdwa vcc, v18, v51 src0_sel:WORD_0 src1_sel:DWORD
	v_cndmask_b32_e32 v14, v3, v18, vcc
; %bb.459:                              ;   in Loop: Header=BB6_419 Depth=2
	s_or_b64 exec, exec, s[42:43]
	v_mov_b32_e32 v3, v11
	v_lshlrev_b32_e32 v4, 16, v3
	v_lshlrev_b32_e32 v6, 16, v15
	v_pk_add_f32 v[10:11], v[4:5], v[6:7] op_sel_hi:[0,1]
	v_and_b32_e32 v4, 0x7f800000, v10
	v_cmp_ne_u32_e32 vcc, s60, v4
                                        ; implicit-def: $vgpr18
	s_and_saveexec_b64 s[42:43], vcc
	s_xor_b64 vcc, exec, s[42:43]
; %bb.460:                              ;   in Loop: Header=BB6_419 Depth=2
	v_bfe_u32 v4, v10, 16, 1
	v_add3_u32 v18, v10, v4, s61
                                        ; implicit-def: $vgpr10_vgpr11
; %bb.461:                              ;   in Loop: Header=BB6_419 Depth=2
	s_andn2_saveexec_b64 s[42:43], vcc
; %bb.462:                              ;   in Loop: Header=BB6_419 Depth=2
	v_or_b32_e32 v4, 0x10000, v10
	v_cmp_eq_u32_sdwa vcc, v10, v51 src0_sel:WORD_0 src1_sel:DWORD
	v_cndmask_b32_e32 v18, v4, v10, vcc
; %bb.463:                              ;   in Loop: Header=BB6_419 Depth=2
	s_or_b64 exec, exec, s[42:43]
	v_and_b32_e32 v4, 0xffff0000, v3
	v_and_b32_e32 v6, 0xffff0000, v15
	v_pk_add_f32 v[10:11], v[4:5], v[6:7] op_sel_hi:[0,1]
	v_and_b32_e32 v3, 0x7f800000, v10
	v_cmp_ne_u32_e32 vcc, s60, v3
                                        ; implicit-def: $vgpr15
	s_and_saveexec_b64 s[42:43], vcc
	s_xor_b64 vcc, exec, s[42:43]
; %bb.464:                              ;   in Loop: Header=BB6_419 Depth=2
	v_bfe_u32 v3, v10, 16, 1
	v_add3_u32 v15, v10, v3, s61
                                        ; implicit-def: $vgpr10_vgpr11
; %bb.465:                              ;   in Loop: Header=BB6_419 Depth=2
	s_andn2_saveexec_b64 s[42:43], vcc
; %bb.466:                              ;   in Loop: Header=BB6_419 Depth=2
	v_or_b32_e32 v3, 0x10000, v10
	v_cmp_eq_u32_sdwa vcc, v10, v51 src0_sel:WORD_0 src1_sel:DWORD
	v_cndmask_b32_e32 v15, v3, v10, vcc
; %bb.467:                              ;   in Loop: Header=BB6_419 Depth=2
	s_or_b64 exec, exec, s[42:43]
	v_lshlrev_b32_e32 v4, 16, v12
	v_lshlrev_b32_e32 v6, 16, v16
	v_pk_add_f32 v[10:11], v[4:5], v[6:7] op_sel_hi:[0,1]
	v_and_b32_e32 v3, 0x7f800000, v10
	v_cmp_ne_u32_e32 vcc, s60, v3
                                        ; implicit-def: $vgpr19
	s_and_saveexec_b64 s[42:43], vcc
	s_xor_b64 vcc, exec, s[42:43]
; %bb.468:                              ;   in Loop: Header=BB6_419 Depth=2
	v_bfe_u32 v3, v10, 16, 1
	v_add3_u32 v19, v10, v3, s61
                                        ; implicit-def: $vgpr10_vgpr11
; %bb.469:                              ;   in Loop: Header=BB6_419 Depth=2
	s_andn2_saveexec_b64 s[42:43], vcc
; %bb.470:                              ;   in Loop: Header=BB6_419 Depth=2
	v_or_b32_e32 v3, 0x10000, v10
	v_cmp_eq_u32_sdwa vcc, v10, v51 src0_sel:WORD_0 src1_sel:DWORD
	v_cndmask_b32_e32 v19, v3, v10, vcc
; %bb.471:                              ;   in Loop: Header=BB6_419 Depth=2
	s_or_b64 exec, exec, s[42:43]
	v_and_b32_e32 v4, 0xffff0000, v12
	v_and_b32_e32 v6, 0xffff0000, v16
	v_pk_add_f32 v[10:11], v[4:5], v[6:7] op_sel_hi:[0,1]
	v_and_b32_e32 v3, 0x7f800000, v10
	v_cmp_ne_u32_e32 vcc, s60, v3
                                        ; implicit-def: $vgpr12
	s_and_saveexec_b64 s[42:43], vcc
	s_xor_b64 vcc, exec, s[42:43]
; %bb.472:                              ;   in Loop: Header=BB6_419 Depth=2
	v_bfe_u32 v3, v10, 16, 1
	v_add3_u32 v12, v10, v3, s61
                                        ; implicit-def: $vgpr10_vgpr11
; %bb.473:                              ;   in Loop: Header=BB6_419 Depth=2
	s_andn2_saveexec_b64 s[42:43], vcc
; %bb.474:                              ;   in Loop: Header=BB6_419 Depth=2
	v_or_b32_e32 v3, 0x10000, v10
	v_cmp_eq_u32_sdwa vcc, v10, v51 src0_sel:WORD_0 src1_sel:DWORD
	v_cndmask_b32_e32 v12, v3, v10, vcc
; %bb.475:                              ;   in Loop: Header=BB6_419 Depth=2
	s_or_b64 exec, exec, s[42:43]
	v_mov_b32_e32 v3, v17
	v_lshlrev_b32_e32 v4, 16, v13
	v_lshlrev_b32_e32 v6, 16, v3
	v_pk_add_f32 v[10:11], v[4:5], v[6:7] op_sel_hi:[0,1]
	v_and_b32_e32 v4, 0x7f800000, v10
	v_cmp_ne_u32_e32 vcc, s60, v4
                                        ; implicit-def: $vgpr16
	s_and_saveexec_b64 s[42:43], vcc
	s_xor_b64 vcc, exec, s[42:43]
; %bb.476:                              ;   in Loop: Header=BB6_419 Depth=2
	v_bfe_u32 v4, v10, 16, 1
	v_add3_u32 v16, v10, v4, s61
                                        ; implicit-def: $vgpr10_vgpr11
; %bb.477:                              ;   in Loop: Header=BB6_419 Depth=2
	s_andn2_saveexec_b64 s[42:43], vcc
; %bb.478:                              ;   in Loop: Header=BB6_419 Depth=2
	v_or_b32_e32 v4, 0x10000, v10
	v_cmp_eq_u32_sdwa vcc, v10, v51 src0_sel:WORD_0 src1_sel:DWORD
	v_cndmask_b32_e32 v16, v4, v10, vcc
; %bb.479:                              ;   in Loop: Header=BB6_419 Depth=2
	s_or_b64 exec, exec, s[42:43]
	v_and_b32_e32 v4, 0xffff0000, v13
	v_and_b32_e32 v6, 0xffff0000, v3
	v_pk_add_f32 v[10:11], v[4:5], v[6:7] op_sel_hi:[0,1]
	v_and_b32_e32 v3, 0x7f800000, v10
	v_cmp_ne_u32_e32 vcc, s60, v3
                                        ; implicit-def: $vgpr3
	s_and_saveexec_b64 s[42:43], vcc
	s_xor_b64 vcc, exec, s[42:43]
; %bb.480:                              ;   in Loop: Header=BB6_419 Depth=2
	v_bfe_u32 v3, v10, 16, 1
	v_add3_u32 v3, v10, v3, s61
                                        ; implicit-def: $vgpr10_vgpr11
; %bb.481:                              ;   in Loop: Header=BB6_419 Depth=2
	s_andn2_saveexec_b64 s[42:43], vcc
	s_cbranch_execz .LBB6_418
; %bb.482:                              ;   in Loop: Header=BB6_419 Depth=2
	v_or_b32_e32 v3, 0x10000, v10
	v_cmp_eq_u32_sdwa vcc, v10, v51 src0_sel:WORD_0 src1_sel:DWORD
	v_cndmask_b32_e32 v3, v3, v10, vcc
	s_branch .LBB6_418
.LBB6_483:                              ;   in Loop: Header=BB6_346 Depth=1
	s_or_b64 exec, exec, s[40:41]
	v_accvgpr_read_b32 v45, a5
	v_accvgpr_read_b32 v44, a4
	;; [unrolled: 1-line block ×5, first 2 shown]
.LBB6_484:                              ;   in Loop: Header=BB6_346 Depth=1
	s_or_b64 exec, exec, s[18:19]
	v_lshlrev_b32_e32 v29, 11, v3
	v_cmp_ne_u32_e32 vcc, v50, v29
	s_mov_b64 s[42:43], 0
	v_mov_b32_e32 v3, 0
                                        ; implicit-def: $vgpr18
                                        ; implicit-def: $vgpr10
	s_and_saveexec_b64 s[40:41], vcc
	s_cbranch_execz .LBB6_524
; %bb.485:                              ;   in Loop: Header=BB6_346 Depth=1
	v_lshlrev_b32_e32 v3, 6, v43
	v_accvgpr_read_b32 v5, a15
	v_sub_u32_e32 v3, v5, v3
	v_ashrrev_i32_e32 v5, 31, v3
	v_lshrrev_b32_e32 v5, 26, v5
	v_add_u32_e32 v5, v3, v5
	v_sub_u32_e32 v4, v50, v29
	v_ashrrev_i32_e32 v6, 6, v5
	v_and_b32_e32 v5, 0xffffffc0, v5
	v_sub_u32_e32 v43, v3, v5
	v_ashrrev_i32_e32 v5, 31, v4
	v_lshrrev_b32_e32 v5, 22, v5
	v_add_u32_e32 v5, v4, v5
	v_and_b32_e32 v44, 0xfffffc00, v5
	v_lshlrev_b32_e32 v3, 4, v43
	v_sub_u32_e32 v46, v4, v44
	v_lshl_add_u32 v3, v6, 10, v3
	v_ashrrev_i32_e32 v7, 10, v5
	v_cmp_lt_i32_e32 vcc, 15, v46
	v_sub_u32_e32 v47, v4, v3
	v_addc_co_u32_e64 v4, s[18:19], 0, v7, vcc
	v_sub_u32_e32 v45, v4, v6
	v_cmp_lt_i32_e64 s[18:19], 15, v47
	s_and_saveexec_b64 s[42:43], s[18:19]
	s_cbranch_execz .LBB6_521
; %bb.486:                              ;   in Loop: Header=BB6_346 Depth=1
	s_trap 2
	ds_read_b128 v[4:7], v0
	ds_read_b64 v[8:9], v0
	v_add_u32_e32 v3, v3, v29
	v_ashrrev_i32_e32 v10, 31, v3
	s_mov_b64 s[44:45], 0
	s_waitcnt lgkmcnt(0)
	v_add_co_u32_e64 v18, s[18:19], v4, v3
	v_addc_co_u32_e64 v19, s[18:19], v5, v10, s[18:19]
	v_add_co_u32_e64 v20, s[18:19], v6, v3
	v_addc_co_u32_e64 v21, s[18:19], v7, v10, s[18:19]
	s_waitcnt lgkmcnt(0)
	v_add_co_u32_e64 v22, s[18:19], v8, v3
	v_addc_co_u32_e64 v23, s[18:19], v9, v10, s[18:19]
	s_branch .LBB6_488
.LBB6_487:                              ;   in Loop: Header=BB6_488 Depth=2
	s_or_b64 exec, exec, s[46:47]
	v_add_co_u32_e64 v18, s[18:19], v18, v62
	v_lshrrev_b32_e32 v4, 16, v24
	v_addc_co_u32_e64 v19, s[18:19], v19, v26, s[18:19]
	v_and_or_b32 v5, v15, s63, v4
	v_lshrrev_b32_e32 v4, 16, v56
	v_lshrrev_b32_e32 v6, 16, v25
	;; [unrolled: 1-line block ×3, first 2 shown]
	v_add_co_u32_e64 v20, s[18:19], v20, v62
	v_and_or_b32 v4, v14, s63, v4
	v_and_or_b32 v6, v12, s63, v6
	;; [unrolled: 1-line block ×3, first 2 shown]
	v_addc_co_u32_e64 v21, s[18:19], v21, v26, s[18:19]
	global_store_dwordx4 v[22:23], v[4:7], off glc slc
	v_add_co_u32_e64 v22, s[18:19], v22, v62
	v_accvgpr_read_b32 v3, a18
	v_addc_co_u32_e64 v23, s[18:19], v23, v26, s[18:19]
	v_sub_u32_e32 v47, v47, v3
	v_cmp_gt_i32_e64 s[18:19], 16, v47
	s_or_b64 s[44:45], s[18:19], s[44:45]
	v_sub_u32_e32 v45, v45, v30
	s_andn2_b64 exec, exec, s[44:45]
	s_cbranch_execz .LBB6_520
.LBB6_488:                              ;   Parent Loop BB6_346 Depth=1
                                        ; =>  This Inner Loop Header: Depth=2
	global_load_dwordx4 v[10:13], v[20:21], off glc slc
	global_load_dwordx4 v[14:17], v[18:19], off glc slc
                                        ; implicit-def: $vgpr56
	s_waitcnt vmcnt(0)
	v_lshlrev_b32_e32 v4, 16, v10
	s_waitcnt vmcnt(0)
	v_lshlrev_b32_e32 v6, 16, v14
	v_pk_add_f32 v[24:25], v[4:5], v[6:7] op_sel_hi:[0,1]
	v_and_b32_e32 v3, 0x7f800000, v24
	v_cmp_ne_u32_e64 s[18:19], s60, v3
	s_and_saveexec_b64 s[46:47], s[18:19]
	s_xor_b64 s[18:19], exec, s[46:47]
; %bb.489:                              ;   in Loop: Header=BB6_488 Depth=2
	v_bfe_u32 v3, v24, 16, 1
	v_add3_u32 v56, v24, v3, s61
                                        ; implicit-def: $vgpr24_vgpr25
; %bb.490:                              ;   in Loop: Header=BB6_488 Depth=2
	s_andn2_saveexec_b64 s[46:47], s[18:19]
; %bb.491:                              ;   in Loop: Header=BB6_488 Depth=2
	v_or_b32_e32 v3, 0x10000, v24
	v_cmp_eq_u32_sdwa s[18:19], v24, v51 src0_sel:WORD_0 src1_sel:DWORD
	v_cndmask_b32_e64 v56, v3, v24, s[18:19]
; %bb.492:                              ;   in Loop: Header=BB6_488 Depth=2
	s_or_b64 exec, exec, s[46:47]
	v_and_b32_e32 v4, 0xffff0000, v10
	v_and_b32_e32 v6, 0xffff0000, v14
	v_pk_add_f32 v[24:25], v[4:5], v[6:7] op_sel_hi:[0,1]
	v_and_b32_e32 v3, 0x7f800000, v24
	v_cmp_ne_u32_e64 s[18:19], s60, v3
                                        ; implicit-def: $vgpr14
	s_and_saveexec_b64 s[46:47], s[18:19]
	s_xor_b64 s[18:19], exec, s[46:47]
; %bb.493:                              ;   in Loop: Header=BB6_488 Depth=2
	v_bfe_u32 v3, v24, 16, 1
	v_add3_u32 v14, v24, v3, s61
                                        ; implicit-def: $vgpr24_vgpr25
; %bb.494:                              ;   in Loop: Header=BB6_488 Depth=2
	s_andn2_saveexec_b64 s[46:47], s[18:19]
; %bb.495:                              ;   in Loop: Header=BB6_488 Depth=2
	v_or_b32_e32 v3, 0x10000, v24
	v_cmp_eq_u32_sdwa s[18:19], v24, v51 src0_sel:WORD_0 src1_sel:DWORD
	v_cndmask_b32_e64 v14, v3, v24, s[18:19]
; %bb.496:                              ;   in Loop: Header=BB6_488 Depth=2
	s_or_b64 exec, exec, s[46:47]
	v_mov_b32_e32 v3, v11
	v_lshlrev_b32_e32 v4, 16, v3
	v_lshlrev_b32_e32 v6, 16, v15
	v_pk_add_f32 v[10:11], v[4:5], v[6:7] op_sel_hi:[0,1]
	v_and_b32_e32 v4, 0x7f800000, v10
	v_cmp_ne_u32_e64 s[18:19], s60, v4
                                        ; implicit-def: $vgpr24
	s_and_saveexec_b64 s[46:47], s[18:19]
	s_xor_b64 s[18:19], exec, s[46:47]
; %bb.497:                              ;   in Loop: Header=BB6_488 Depth=2
	v_bfe_u32 v4, v10, 16, 1
	v_add3_u32 v24, v10, v4, s61
                                        ; implicit-def: $vgpr10_vgpr11
; %bb.498:                              ;   in Loop: Header=BB6_488 Depth=2
	s_andn2_saveexec_b64 s[46:47], s[18:19]
; %bb.499:                              ;   in Loop: Header=BB6_488 Depth=2
	v_or_b32_e32 v4, 0x10000, v10
	v_cmp_eq_u32_sdwa s[18:19], v10, v51 src0_sel:WORD_0 src1_sel:DWORD
	v_cndmask_b32_e64 v24, v4, v10, s[18:19]
; %bb.500:                              ;   in Loop: Header=BB6_488 Depth=2
	s_or_b64 exec, exec, s[46:47]
	v_and_b32_e32 v4, 0xffff0000, v3
	v_and_b32_e32 v6, 0xffff0000, v15
	v_pk_add_f32 v[10:11], v[4:5], v[6:7] op_sel_hi:[0,1]
	v_and_b32_e32 v3, 0x7f800000, v10
	v_cmp_ne_u32_e64 s[18:19], s60, v3
                                        ; implicit-def: $vgpr15
	s_and_saveexec_b64 s[46:47], s[18:19]
	s_xor_b64 s[18:19], exec, s[46:47]
; %bb.501:                              ;   in Loop: Header=BB6_488 Depth=2
	v_bfe_u32 v3, v10, 16, 1
	v_add3_u32 v15, v10, v3, s61
                                        ; implicit-def: $vgpr10_vgpr11
; %bb.502:                              ;   in Loop: Header=BB6_488 Depth=2
	s_andn2_saveexec_b64 s[46:47], s[18:19]
; %bb.503:                              ;   in Loop: Header=BB6_488 Depth=2
	v_or_b32_e32 v3, 0x10000, v10
	v_cmp_eq_u32_sdwa s[18:19], v10, v51 src0_sel:WORD_0 src1_sel:DWORD
	v_cndmask_b32_e64 v15, v3, v10, s[18:19]
; %bb.504:                              ;   in Loop: Header=BB6_488 Depth=2
	s_or_b64 exec, exec, s[46:47]
	v_lshlrev_b32_e32 v4, 16, v12
	v_lshlrev_b32_e32 v6, 16, v16
	v_pk_add_f32 v[10:11], v[4:5], v[6:7] op_sel_hi:[0,1]
	v_and_b32_e32 v3, 0x7f800000, v10
	v_cmp_ne_u32_e64 s[18:19], s60, v3
                                        ; implicit-def: $vgpr25
	s_and_saveexec_b64 s[46:47], s[18:19]
	s_xor_b64 s[18:19], exec, s[46:47]
; %bb.505:                              ;   in Loop: Header=BB6_488 Depth=2
	v_bfe_u32 v3, v10, 16, 1
	v_add3_u32 v25, v10, v3, s61
                                        ; implicit-def: $vgpr10_vgpr11
; %bb.506:                              ;   in Loop: Header=BB6_488 Depth=2
	s_andn2_saveexec_b64 s[46:47], s[18:19]
; %bb.507:                              ;   in Loop: Header=BB6_488 Depth=2
	v_or_b32_e32 v3, 0x10000, v10
	v_cmp_eq_u32_sdwa s[18:19], v10, v51 src0_sel:WORD_0 src1_sel:DWORD
	v_cndmask_b32_e64 v25, v3, v10, s[18:19]
; %bb.508:                              ;   in Loop: Header=BB6_488 Depth=2
	s_or_b64 exec, exec, s[46:47]
	v_and_b32_e32 v4, 0xffff0000, v12
	v_and_b32_e32 v6, 0xffff0000, v16
	v_pk_add_f32 v[10:11], v[4:5], v[6:7] op_sel_hi:[0,1]
	v_and_b32_e32 v3, 0x7f800000, v10
	v_cmp_ne_u32_e64 s[18:19], s60, v3
                                        ; implicit-def: $vgpr12
	s_and_saveexec_b64 s[46:47], s[18:19]
	s_xor_b64 s[18:19], exec, s[46:47]
; %bb.509:                              ;   in Loop: Header=BB6_488 Depth=2
	v_bfe_u32 v3, v10, 16, 1
	v_add3_u32 v12, v10, v3, s61
                                        ; implicit-def: $vgpr10_vgpr11
; %bb.510:                              ;   in Loop: Header=BB6_488 Depth=2
	s_andn2_saveexec_b64 s[46:47], s[18:19]
; %bb.511:                              ;   in Loop: Header=BB6_488 Depth=2
	v_or_b32_e32 v3, 0x10000, v10
	v_cmp_eq_u32_sdwa s[18:19], v10, v51 src0_sel:WORD_0 src1_sel:DWORD
	v_cndmask_b32_e64 v12, v3, v10, s[18:19]
; %bb.512:                              ;   in Loop: Header=BB6_488 Depth=2
	s_or_b64 exec, exec, s[46:47]
	v_mov_b32_e32 v3, v17
	v_lshlrev_b32_e32 v4, 16, v13
	v_lshlrev_b32_e32 v6, 16, v3
	v_pk_add_f32 v[10:11], v[4:5], v[6:7] op_sel_hi:[0,1]
	v_and_b32_e32 v4, 0x7f800000, v10
	v_cmp_ne_u32_e64 s[18:19], s60, v4
                                        ; implicit-def: $vgpr16
	s_and_saveexec_b64 s[46:47], s[18:19]
	s_xor_b64 s[18:19], exec, s[46:47]
; %bb.513:                              ;   in Loop: Header=BB6_488 Depth=2
	v_bfe_u32 v4, v10, 16, 1
	v_add3_u32 v16, v10, v4, s61
                                        ; implicit-def: $vgpr10_vgpr11
; %bb.514:                              ;   in Loop: Header=BB6_488 Depth=2
	s_andn2_saveexec_b64 s[46:47], s[18:19]
; %bb.515:                              ;   in Loop: Header=BB6_488 Depth=2
	v_or_b32_e32 v4, 0x10000, v10
	v_cmp_eq_u32_sdwa s[18:19], v10, v51 src0_sel:WORD_0 src1_sel:DWORD
	v_cndmask_b32_e64 v16, v4, v10, s[18:19]
; %bb.516:                              ;   in Loop: Header=BB6_488 Depth=2
	s_or_b64 exec, exec, s[46:47]
	v_and_b32_e32 v4, 0xffff0000, v13
	v_and_b32_e32 v6, 0xffff0000, v3
	v_pk_add_f32 v[10:11], v[4:5], v[6:7] op_sel_hi:[0,1]
	v_and_b32_e32 v3, 0x7f800000, v10
	v_cmp_ne_u32_e64 s[18:19], s60, v3
                                        ; implicit-def: $vgpr3
	s_and_saveexec_b64 s[46:47], s[18:19]
	s_xor_b64 s[18:19], exec, s[46:47]
; %bb.517:                              ;   in Loop: Header=BB6_488 Depth=2
	v_bfe_u32 v3, v10, 16, 1
	v_add3_u32 v3, v10, v3, s61
                                        ; implicit-def: $vgpr10_vgpr11
; %bb.518:                              ;   in Loop: Header=BB6_488 Depth=2
	s_andn2_saveexec_b64 s[46:47], s[18:19]
	s_cbranch_execz .LBB6_487
; %bb.519:                              ;   in Loop: Header=BB6_488 Depth=2
	v_or_b32_e32 v3, 0x10000, v10
	v_cmp_eq_u32_sdwa s[18:19], v10, v51 src0_sel:WORD_0 src1_sel:DWORD
	v_cndmask_b32_e64 v3, v3, v10, s[18:19]
	s_branch .LBB6_487
.LBB6_520:                              ;   in Loop: Header=BB6_346 Depth=1
	s_or_b64 exec, exec, s[44:45]
.LBB6_521:                              ;   in Loop: Header=BB6_346 Depth=1
	s_or_b64 exec, exec, s[42:43]
	v_and_b32_e32 v11, 14, v50
	v_cndmask_b32_e32 v50, v46, v11, vcc
	v_cmp_ne_u32_e64 s[18:19], 0, v50
	s_mov_b64 s[42:43], 0
	v_mov_b32_e32 v3, 0
                                        ; implicit-def: $vgpr18
                                        ; implicit-def: $vgpr10
	s_and_saveexec_b64 s[44:45], s[18:19]
	s_cbranch_execz .LBB6_523
; %bb.522:                              ;   in Loop: Header=BB6_346 Depth=1
	v_sub_u32_e32 v3, v46, v11
	v_cndmask_b32_e32 v3, 0, v3, vcc
	v_cmp_lt_i32_e32 vcc, 0, v45
	v_cndmask_b32_e32 v4, 0, v30, vcc
	v_sub_u32_e32 v4, v4, v45
	v_lshl_add_u32 v18, v4, 6, v43
	v_ashrrev_i32_e32 v4, 31, v18
	v_lshrrev_b32_e32 v4, 26, v4
	v_add_u32_e32 v4, v18, v4
	s_mov_b64 s[42:43], exec
	v_add3_u32 v3, v44, v29, v3
	v_ashrrev_i32_e32 v10, 6, v4
.LBB6_523:                              ;   in Loop: Header=BB6_346 Depth=1
	s_or_b64 exec, exec, s[44:45]
	v_accvgpr_read_b32 v45, a5
	s_and_b64 s[42:43], s[42:43], exec
	v_accvgpr_read_b32 v44, a4
	v_accvgpr_read_b32 v46, a19
.LBB6_524:                              ;   in Loop: Header=BB6_346 Depth=1
	s_or_b64 exec, exec, s[40:41]
	s_and_saveexec_b64 s[18:19], s[42:43]
	s_cbranch_execz .LBB6_553
.LBB6_525:                              ;   in Loop: Header=BB6_346 Depth=1
	v_ashrrev_i32_e32 v4, 31, v50
	v_lshrrev_b32_e32 v4, 23, v4
	v_add_u32_e32 v4, v50, v4
	v_ashrrev_i32_e32 v21, 9, v4
	v_sub_u32_e32 v19, v21, v10
	v_ashrrev_i32_e32 v4, 31, v18
	v_cmp_lt_i32_e32 vcc, 0, v19
	v_lshrrev_b32_e32 v20, 26, v4
	s_and_saveexec_b64 s[40:41], vcc
	s_cbranch_execz .LBB6_545
; %bb.526:                              ;   in Loop: Header=BB6_346 Depth=1
	v_add_u32_e32 v4, v18, v20
	v_and_b32_e32 v4, 0x7fffffc0, v4
	v_sub_u32_e32 v4, v18, v4
	s_trap 2
	v_lshlrev_b32_e32 v8, 1, v4
	ds_read_b128 v[4:7], v0
	v_lshlrev_b32_e32 v9, 9, v10
	v_add3_u32 v14, v8, v3, v9
	ds_read_b64 v[8:9], v0
	v_ashrrev_i32_e32 v15, 31, v14
	s_waitcnt lgkmcnt(0)
	v_add_co_u32_e32 v10, vcc, v4, v14
	v_addc_co_u32_e32 v11, vcc, v5, v15, vcc
	v_add_co_u32_e32 v12, vcc, v6, v14
	v_addc_co_u32_e32 v13, vcc, v7, v15, vcc
	s_waitcnt lgkmcnt(0)
	v_add_co_u32_e32 v14, vcc, v8, v14
	v_addc_co_u32_e32 v15, vcc, v9, v15, vcc
	s_mov_b64 s[42:43], 0
	s_branch .LBB6_528
.LBB6_527:                              ;   in Loop: Header=BB6_528 Depth=2
	s_or_b64 exec, exec, s[44:45]
	v_add_co_u32_e32 v10, vcc, v10, v55
	v_addc_co_u32_e32 v11, vcc, v11, v60, vcc
	v_add_co_u32_e32 v12, vcc, v12, v55
	v_addc_co_u32_e32 v13, vcc, v13, v60, vcc
	v_sub_u32_e32 v19, v19, v30
	v_cmp_gt_i32_e32 vcc, 1, v19
	flat_store_short_d16_hi v[14:15], v22 glc slc
	flat_store_short_d16_hi v[14:15], v25 offset:128 glc slc
	flat_store_short_d16_hi v[14:15], v29 offset:256 glc slc
	;; [unrolled: 1-line block ×3, first 2 shown]
	s_or_b64 s[42:43], vcc, s[42:43]
	v_add_co_u32_e32 v14, vcc, v14, v55
	v_addc_co_u32_e32 v15, vcc, v15, v60, vcc
	s_andn2_b64 exec, exec, s[42:43]
	s_cbranch_execz .LBB6_544
.LBB6_528:                              ;   Parent Loop BB6_346 Depth=1
                                        ; =>  This Inner Loop Header: Depth=2
	flat_load_ushort v29, v[10:11] offset:256 glc slc
	flat_load_ushort v23, v[10:11] offset:384 glc slc
	;; [unrolled: 1-line block ×4, first 2 shown]
	flat_load_ushort v4, v[12:13] glc slc
	flat_load_ushort v5, v[10:11] glc slc
	flat_load_ushort v25, v[10:11] offset:128 glc slc
	flat_load_ushort v44, v[12:13] offset:128 glc slc
                                        ; implicit-def: $vgpr22
	s_waitcnt vmcnt(0) lgkmcnt(0)
	v_lshlrev_b32_e32 v4, 16, v4
	v_lshlrev_b32_e32 v6, 16, v5
	v_pk_add_f32 v[16:17], v[4:5], v[6:7] op_sel_hi:[0,1]
	v_and_b32_e32 v4, 0x7f800000, v16
	v_cmp_ne_u32_e32 vcc, s60, v4
	s_and_saveexec_b64 s[44:45], vcc
	s_xor_b64 vcc, exec, s[44:45]
; %bb.529:                              ;   in Loop: Header=BB6_528 Depth=2
	v_bfe_u32 v4, v16, 16, 1
	v_add3_u32 v22, v16, v4, s61
                                        ; implicit-def: $vgpr16_vgpr17
; %bb.530:                              ;   in Loop: Header=BB6_528 Depth=2
	s_andn2_saveexec_b64 s[44:45], vcc
; %bb.531:                              ;   in Loop: Header=BB6_528 Depth=2
	v_or_b32_e32 v4, 0x10000, v16
	v_cmp_eq_u32_sdwa vcc, v16, v51 src0_sel:WORD_0 src1_sel:DWORD
	v_cndmask_b32_e32 v22, v4, v16, vcc
; %bb.532:                              ;   in Loop: Header=BB6_528 Depth=2
	s_or_b64 exec, exec, s[44:45]
	v_lshlrev_b32_e32 v4, 16, v44
	v_lshlrev_b32_e32 v6, 16, v25
	v_pk_add_f32 v[16:17], v[4:5], v[6:7] op_sel_hi:[0,1]
	v_and_b32_e32 v4, 0x7f800000, v16
	v_cmp_ne_u32_e32 vcc, s60, v4
                                        ; implicit-def: $vgpr25
	s_and_saveexec_b64 s[44:45], vcc
	s_xor_b64 vcc, exec, s[44:45]
; %bb.533:                              ;   in Loop: Header=BB6_528 Depth=2
	v_bfe_u32 v4, v16, 16, 1
	v_add3_u32 v25, v16, v4, s61
                                        ; implicit-def: $vgpr16_vgpr17
; %bb.534:                              ;   in Loop: Header=BB6_528 Depth=2
	s_andn2_saveexec_b64 s[44:45], vcc
; %bb.535:                              ;   in Loop: Header=BB6_528 Depth=2
	v_or_b32_e32 v4, 0x10000, v16
	v_cmp_eq_u32_sdwa vcc, v16, v51 src0_sel:WORD_0 src1_sel:DWORD
	v_cndmask_b32_e32 v25, v4, v16, vcc
; %bb.536:                              ;   in Loop: Header=BB6_528 Depth=2
	s_or_b64 exec, exec, s[44:45]
	v_lshlrev_b32_e32 v4, 16, v43
	v_lshlrev_b32_e32 v6, 16, v29
	v_pk_add_f32 v[16:17], v[4:5], v[6:7] op_sel_hi:[0,1]
	v_and_b32_e32 v4, 0x7f800000, v16
	v_cmp_ne_u32_e32 vcc, s60, v4
                                        ; implicit-def: $vgpr29
	s_and_saveexec_b64 s[44:45], vcc
	s_xor_b64 vcc, exec, s[44:45]
; %bb.537:                              ;   in Loop: Header=BB6_528 Depth=2
	v_bfe_u32 v4, v16, 16, 1
	v_add3_u32 v29, v16, v4, s61
                                        ; implicit-def: $vgpr16_vgpr17
; %bb.538:                              ;   in Loop: Header=BB6_528 Depth=2
	s_andn2_saveexec_b64 s[44:45], vcc
; %bb.539:                              ;   in Loop: Header=BB6_528 Depth=2
	v_or_b32_e32 v4, 0x10000, v16
	v_cmp_eq_u32_sdwa vcc, v16, v51 src0_sel:WORD_0 src1_sel:DWORD
	v_cndmask_b32_e32 v29, v4, v16, vcc
; %bb.540:                              ;   in Loop: Header=BB6_528 Depth=2
	s_or_b64 exec, exec, s[44:45]
	v_lshlrev_b32_e32 v4, 16, v24
	v_lshlrev_b32_e32 v6, 16, v23
	v_pk_add_f32 v[16:17], v[4:5], v[6:7] op_sel_hi:[0,1]
	v_and_b32_e32 v4, 0x7f800000, v16
	v_cmp_ne_u32_e32 vcc, s60, v4
                                        ; implicit-def: $vgpr23
	s_and_saveexec_b64 s[44:45], vcc
	s_xor_b64 vcc, exec, s[44:45]
; %bb.541:                              ;   in Loop: Header=BB6_528 Depth=2
	v_bfe_u32 v4, v16, 16, 1
	v_add3_u32 v23, v16, v4, s61
                                        ; implicit-def: $vgpr16_vgpr17
; %bb.542:                              ;   in Loop: Header=BB6_528 Depth=2
	s_andn2_saveexec_b64 s[44:45], vcc
	s_cbranch_execz .LBB6_527
; %bb.543:                              ;   in Loop: Header=BB6_528 Depth=2
	v_or_b32_e32 v4, 0x10000, v16
	v_cmp_eq_u32_sdwa vcc, v16, v51 src0_sel:WORD_0 src1_sel:DWORD
	v_cndmask_b32_e32 v23, v4, v16, vcc
	s_branch .LBB6_527
.LBB6_544:                              ;   in Loop: Header=BB6_346 Depth=1
	s_or_b64 exec, exec, s[42:43]
	v_accvgpr_read_b32 v45, a5
	v_accvgpr_read_b32 v44, a4
.LBB6_545:                              ;   in Loop: Header=BB6_346 Depth=1
	s_or_b64 exec, exec, s[40:41]
	v_lshlrev_b32_e32 v10, 9, v21
	v_cmp_ne_u32_e32 vcc, v50, v10
	s_and_b64 exec, exec, vcc
	s_cbranch_execz .LBB6_553
; %bb.546:                              ;   in Loop: Header=BB6_346 Depth=1
	v_add_u32_e32 v4, v18, v20
	v_and_b32_e32 v4, 0xffffffc0, v4
	v_sub_u32_e32 v4, v18, v4
	v_lshlrev_b32_e32 v5, 6, v19
	v_sub_u32_e32 v4, v4, v5
	v_ashrrev_i32_e32 v5, 31, v4
	v_lshrrev_b32_e32 v5, 26, v5
	v_add_u32_e32 v5, v4, v5
	v_and_b32_e32 v6, 0x7fffffc0, v5
	v_sub_u32_e32 v4, v4, v6
	v_lshlrev_b32_e32 v5, 1, v5
	v_and_b32_e32 v5, 0xffffff80, v5
	v_lshlrev_b32_e32 v4, 1, v4
	v_add3_u32 v10, v5, v4, v10
	v_sub_u32_e32 v18, v50, v10
	v_cmp_lt_i32_e32 vcc, 1, v18
	s_and_b64 exec, exec, vcc
	s_cbranch_execz .LBB6_553
; %bb.547:                              ;   in Loop: Header=BB6_346 Depth=1
	s_trap 2
	ds_read_b128 v[4:7], v0
	ds_read_b64 v[8:9], v0
	v_add_u32_e32 v3, v10, v3
	v_ashrrev_i32_e32 v15, 31, v3
	s_mov_b64 s[40:41], 0
	s_waitcnt lgkmcnt(0)
	v_add_co_u32_e32 v10, vcc, v4, v3
	v_addc_co_u32_e32 v11, vcc, v5, v15, vcc
	v_add_co_u32_e32 v12, vcc, v6, v3
	v_addc_co_u32_e32 v13, vcc, v7, v15, vcc
	;; [unrolled: 2-line block ×3, first 2 shown]
	s_branch .LBB6_549
.LBB6_548:                              ;   in Loop: Header=BB6_549 Depth=2
	s_or_b64 exec, exec, s[42:43]
	v_add_co_u32_e32 v10, vcc, v10, v61
	v_addc_co_u32_e32 v11, vcc, v11, v2, vcc
	v_add_co_u32_e32 v12, vcc, v12, v61
	v_addc_co_u32_e32 v13, vcc, v13, v2, vcc
	v_sub_u32_e32 v18, v18, v46
	v_cmp_gt_i32_e32 vcc, 2, v18
	flat_store_short_d16_hi v[14:15], v3 glc slc
	s_or_b64 s[40:41], vcc, s[40:41]
	v_add_co_u32_e32 v14, vcc, v14, v61
	v_addc_co_u32_e32 v15, vcc, v15, v2, vcc
	s_andn2_b64 exec, exec, s[40:41]
	s_cbranch_execz .LBB6_553
.LBB6_549:                              ;   Parent Loop BB6_346 Depth=1
                                        ; =>  This Inner Loop Header: Depth=2
	flat_load_ushort v3, v[12:13] glc slc
	flat_load_ushort v5, v[10:11] glc slc
	s_waitcnt vmcnt(0) lgkmcnt(0)
	v_lshlrev_b32_e32 v4, 16, v3
	v_lshlrev_b32_e32 v6, 16, v5
	v_pk_add_f32 v[16:17], v[4:5], v[6:7] op_sel_hi:[0,1]
	v_and_b32_e32 v3, 0x7f800000, v16
	v_cmp_ne_u32_e32 vcc, s60, v3
                                        ; implicit-def: $vgpr3
	s_and_saveexec_b64 s[42:43], vcc
	s_xor_b64 vcc, exec, s[42:43]
; %bb.550:                              ;   in Loop: Header=BB6_549 Depth=2
	v_bfe_u32 v3, v16, 16, 1
	v_add3_u32 v3, v16, v3, s61
                                        ; implicit-def: $vgpr16_vgpr17
; %bb.551:                              ;   in Loop: Header=BB6_549 Depth=2
	s_andn2_saveexec_b64 s[42:43], vcc
	s_cbranch_execz .LBB6_548
; %bb.552:                              ;   in Loop: Header=BB6_549 Depth=2
	v_or_b32_e32 v3, 0x10000, v16
	v_cmp_eq_u32_sdwa vcc, v16, v51 src0_sel:WORD_0 src1_sel:DWORD
	v_cndmask_b32_e32 v3, v3, v16, vcc
	s_branch .LBB6_548
.LBB6_553:                              ;   in Loop: Header=BB6_346 Depth=1
	s_or_b64 exec, exec, s[18:19]
	v_cmp_ne_u32_e64 s[18:19], 0, v1
.LBB6_554:                              ;   in Loop: Header=BB6_346 Depth=1
	s_and_saveexec_b64 s[40:41], s[10:11]
	s_cbranch_execz .LBB6_573
; %bb.555:                              ;   in Loop: Header=BB6_346 Depth=1
	s_and_saveexec_b64 vcc, s[28:29]
	s_xor_b64 s[42:43], exec, vcc
	s_cbranch_execz .LBB6_570
; %bb.556:                              ;   in Loop: Header=BB6_346 Depth=1
	s_and_saveexec_b64 s[44:45], s[12:13]
	s_cbranch_execz .LBB6_569
; %bb.557:                              ;   in Loop: Header=BB6_346 Depth=1
	s_mov_b64 s[48:49], exec
	v_mbcnt_lo_u32_b32 v1, s48, 0
	v_mbcnt_hi_u32_b32 v1, s49, v1
	v_cmp_eq_u32_e32 vcc, 0, v1
	s_waitcnt vmcnt(0) lgkmcnt(0)
	buffer_wbinvl1_vol
	s_and_saveexec_b64 s[46:47], vcc
	s_cbranch_execz .LBB6_559
; %bb.558:                              ;   in Loop: Header=BB6_346 Depth=1
	s_bcnt1_i32_b64 vcc_lo, s[48:49]
	v_mov_b32_e32 v50, vcc_lo
	ds_add_u64 v0, v[50:51]
	s_trap 2
.LBB6_559:                              ;   in Loop: Header=BB6_346 Depth=1
	s_or_b64 exec, exec, s[46:47]
	s_trap 2
	ds_read_b64 v[4:5], v0
	v_add_co_u32_e32 v38, vcc, v38, v30
	v_addc_co_u32_e32 v39, vcc, 0, v39, vcc
	s_waitcnt lgkmcnt(0)
	v_cmp_lt_u64_e32 vcc, v[4:5], v[38:39]
	s_and_saveexec_b64 s[46:47], vcc
	s_cbranch_execz .LBB6_568
; %bb.560:                              ;   in Loop: Header=BB6_346 Depth=1
	s_mov_b32 s64, 0
	s_mov_b64 s[48:49], 0
                                        ; implicit-def: $sgpr50_sgpr51
                                        ; implicit-def: $sgpr52_sgpr53
	s_branch .LBB6_562
.LBB6_561:                              ;   in Loop: Header=BB6_562 Depth=2
	s_or_b64 exec, exec, s[56:57]
	s_and_b64 vcc, exec, vcc
	s_or_b64 s[48:49], vcc, s[48:49]
	s_andn2_b64 vcc, s[50:51], exec
	s_and_b64 s[50:51], s[52:53], exec
	s_or_b64 s[50:51], vcc, s[50:51]
	s_andn2_b64 exec, exec, s[48:49]
	s_cbranch_execz .LBB6_566
.LBB6_562:                              ;   Parent Loop BB6_346 Depth=1
                                        ; =>  This Inner Loop Header: Depth=2
	s_add_i32 s64, s64, 1
	s_cmpk_lg_i32 s64, 0x2710
	s_cselect_b64 s[54:55], -1, 0
	s_and_b64 vcc, exec, s[54:55]
                                        ; implicit-def: $sgpr56_sgpr57
	s_cbranch_vccnz .LBB6_564
; %bb.563:                              ;   in Loop: Header=BB6_562 Depth=2
	s_trap 2
	ds_read_b64 v[4:5], v0
	s_andn2_b64 s[54:55], s[54:55], exec
	s_mov_b32 s64, 0
	s_mov_b64 s[56:57], -1
	s_waitcnt lgkmcnt(0)
	flat_load_dword v1, v[4:5] glc
	s_waitcnt vmcnt(0) lgkmcnt(0)
	buffer_invl2
	buffer_wbinvl1_vol
	v_cmp_eq_u32_e32 vcc, 0, v1
	s_and_b64 vcc, vcc, exec
	s_or_b64 s[54:55], s[54:55], vcc
.LBB6_564:                              ;   in Loop: Header=BB6_562 Depth=2
	s_andn2_b64 s[52:53], s[52:53], exec
	s_and_b64 s[56:57], s[56:57], exec
	s_mov_b64 vcc, -1
	s_or_b64 s[52:53], s[52:53], s[56:57]
	s_and_saveexec_b64 s[56:57], s[54:55]
	s_cbranch_execz .LBB6_561
; %bb.565:                              ;   in Loop: Header=BB6_562 Depth=2
	s_sleep 1
	s_trap 2
	ds_read_b64 v[4:5], v0
	s_andn2_b64 s[52:53], s[52:53], exec
	s_waitcnt lgkmcnt(0)
	v_cmp_ge_u64_e32 vcc, v[4:5], v[38:39]
	s_orn2_b64 vcc, vcc, exec
	s_branch .LBB6_561
.LBB6_566:                              ;   in Loop: Header=BB6_346 Depth=1
	s_or_b64 exec, exec, s[48:49]
	s_and_saveexec_b64 vcc, s[50:51]
	s_xor_b64 vcc, exec, vcc
	s_cbranch_execz .LBB6_568
; %bb.567:                              ;   in Loop: Header=BB6_346 Depth=1
	v_mov_b32_e32 v1, 1
	ds_write_b32 v0, v1
	s_trap 2
.LBB6_568:                              ;   in Loop: Header=BB6_346 Depth=1
	s_or_b64 exec, exec, s[46:47]
	;;#ASMSTART
	s_wakeup
	;;#ASMEND
.LBB6_569:                              ;   in Loop: Header=BB6_346 Depth=1
	s_or_b64 exec, exec, s[44:45]
.LBB6_570:                              ;   in Loop: Header=BB6_346 Depth=1
	s_andn2_saveexec_b64 vcc, s[42:43]
	s_cbranch_execz .LBB6_572
; %bb.571:                              ;   in Loop: Header=BB6_346 Depth=1
	s_waitcnt vmcnt(0) lgkmcnt(0)
	buffer_wbinvl1_vol
	s_barrier
.LBB6_572:                              ;   in Loop: Header=BB6_346 Depth=1
	s_or_b64 exec, exec, vcc
.LBB6_573:                              ;   in Loop: Header=BB6_346 Depth=1
	s_or_b64 exec, exec, s[40:41]
	v_and_b32_e32 v1, 16, v54
	v_cmp_ne_u32_e32 vcc, 0, v1
	s_and_b64 vcc, vcc, s[18:19]
	s_and_saveexec_b64 s[18:19], vcc
	s_cbranch_execz .LBB6_575
; %bb.574:                              ;   in Loop: Header=BB6_346 Depth=1
	s_waitcnt vmcnt(0) lgkmcnt(0)
	buffer_wbinvl1_vol
.LBB6_575:                              ;   in Loop: Header=BB6_346 Depth=1
	s_or_b64 exec, exec, s[18:19]
	v_and_b32_e32 v1, 32, v54
	v_cmp_ne_u32_e32 vcc, 0, v1
	s_and_saveexec_b64 s[18:19], vcc
	s_cbranch_execz .LBB6_577
; %bb.576:                              ;   in Loop: Header=BB6_346 Depth=1
	v_accvgpr_read_b32 v4, a10
	v_accvgpr_read_b32 v6, a12
	;; [unrolled: 1-line block ×3, first 2 shown]
	v_add_co_u32_e32 v6, vcc, 1, v6
	v_addc_co_u32_e32 v7, vcc, 0, v7, vcc
	v_accvgpr_read_b32 v5, a11
	v_accvgpr_write_b32 a13, v7
	v_accvgpr_write_b32 a12, v6
	v_accvgpr_write_b32 a11, v5
	v_accvgpr_write_b32 a10, v4
	flat_store_dwordx2 v[32:33], v[6:7]
.LBB6_577:                              ;   in Loop: Header=BB6_346 Depth=1
	s_or_b64 exec, exec, s[18:19]
	v_mov_b32_e32 v1, v28
.LBB6_578:                              ;   in Loop: Header=BB6_346 Depth=1
	s_or_b64 exec, exec, s[38:39]
	s_and_saveexec_b64 s[38:39], s[36:37]
	s_cbranch_execz .LBB6_345
; %bb.579:                              ;   in Loop: Header=BB6_346 Depth=1
	v_and_b32_e32 v3, 4, v54
	v_cmp_ne_u32_e32 vcc, 0, v3
	s_mov_b64 s[36:37], -1
	s_and_saveexec_b64 s[18:19], vcc
	s_cbranch_execnz .LBB6_582
; %bb.580:                              ;   in Loop: Header=BB6_346 Depth=1
	s_or_b64 exec, exec, s[18:19]
	s_xor_b64 s[18:19], s[36:37], -1
	s_and_saveexec_b64 s[36:37], s[18:19]
	s_cbranch_execnz .LBB6_593
.LBB6_581:                              ;   in Loop: Header=BB6_346 Depth=1
	s_or_b64 exec, exec, s[36:37]
	s_and_saveexec_b64 s[18:19], s[10:11]
	s_cbranch_execnz .LBB6_602
	s_branch .LBB6_620
.LBB6_582:                              ;   in Loop: Header=BB6_346 Depth=1
	v_accvgpr_read_b32 v4, a10
	v_accvgpr_read_b32 v6, a12
	;; [unrolled: 1-line block ×3, first 2 shown]
	v_add_co_u32_e32 v10, vcc, 1, v6
	v_addc_co_u32_e32 v11, vcc, 0, v7, vcc
	v_cmp_lt_u64_e32 vcc, v[36:37], v[10:11]
	v_mov_b32_e32 v3, 1
	v_accvgpr_read_b32 v5, a11
	s_and_saveexec_b64 s[36:37], vcc
	s_cbranch_execz .LBB6_592
; %bb.583:                              ;   in Loop: Header=BB6_346 Depth=1
	s_mov_b64 s[40:41], 0
	v_mov_b32_e32 v3, 0
                                        ; implicit-def: $sgpr42_sgpr43
	s_branch .LBB6_587
.LBB6_584:                              ;   in Loop: Header=BB6_587 Depth=2
	s_or_b64 exec, exec, s[50:51]
	v_mov_b32_e32 v12, 0
	s_orn2_b64 s[48:49], s[48:49], exec
.LBB6_585:                              ;   in Loop: Header=BB6_587 Depth=2
	s_or_b64 exec, exec, s[46:47]
	s_andn2_b64 vcc, s[42:43], exec
	s_and_b64 s[42:43], s[48:49], exec
	s_or_b64 s[42:43], vcc, s[42:43]
	v_mov_b32_e32 v3, v12
.LBB6_586:                              ;   in Loop: Header=BB6_587 Depth=2
	s_or_b64 exec, exec, s[44:45]
	s_waitcnt vmcnt(0) lgkmcnt(0)
	v_cmp_ge_u64_e32 vcc, v[36:37], v[10:11]
	s_xor_b64 s[44:45], s[42:43], -1
	s_or_b64 vcc, s[44:45], vcc
	s_and_b64 vcc, exec, vcc
	s_or_b64 s[40:41], vcc, s[40:41]
	s_andn2_b64 exec, exec, s[40:41]
	s_cbranch_execz .LBB6_591
.LBB6_587:                              ;   Parent Loop BB6_346 Depth=1
                                        ; =>  This Inner Loop Header: Depth=2
	s_sleep 1
	flat_load_dwordx2 v[36:37], v[32:33] glc
	v_and_b32_e32 v4, 64, v54
	v_cmp_eq_u32_e32 vcc, 0, v4
	s_andn2_b64 s[42:43], s[42:43], exec
	s_and_saveexec_b64 s[44:45], vcc
	s_cbranch_execz .LBB6_586
; %bb.588:                              ;   in Loop: Header=BB6_587 Depth=2
	v_add_u32_e32 v12, 1, v3
	v_cmp_lt_i32_e32 vcc, s59, v3
	s_mov_b64 s[48:49], -1
	s_and_saveexec_b64 s[46:47], vcc
	s_cbranch_execz .LBB6_585
; %bb.589:                              ;   in Loop: Header=BB6_587 Depth=2
	s_trap 2
	ds_read_b64 v[4:5], v0
	s_waitcnt vmcnt(0) lgkmcnt(0)
	flat_load_dword v3, v[4:5] glc
	s_waitcnt vmcnt(0) lgkmcnt(0)
	buffer_invl2
	buffer_wbinvl1_vol
	v_cmp_ne_u32_e32 vcc, 0, v3
	s_and_saveexec_b64 s[50:51], vcc
	s_cbranch_execz .LBB6_584
; %bb.590:                              ;   in Loop: Header=BB6_587 Depth=2
	v_or_b32_e32 v54, 64, v54
	s_xor_b64 s[48:49], exec, -1
	ds_write_b32 v0, v3
	s_trap 2
	s_branch .LBB6_584
.LBB6_591:                              ;   in Loop: Header=BB6_346 Depth=1
	s_or_b64 exec, exec, s[40:41]
	v_and_b32_e32 v3, 4, v54
.LBB6_592:                              ;   in Loop: Header=BB6_346 Depth=1
	s_or_b64 exec, exec, s[36:37]
	v_cmp_eq_u32_e32 vcc, 0, v3
	s_orn2_b64 s[36:37], vcc, exec
	;;#ASMSTART
	s_wakeup
	;;#ASMEND
	s_or_b64 exec, exec, s[18:19]
	s_xor_b64 s[18:19], s[36:37], -1
	s_and_saveexec_b64 s[36:37], s[18:19]
	s_cbranch_execz .LBB6_581
.LBB6_593:                              ;   in Loop: Header=BB6_346 Depth=1
	v_accvgpr_read_b32 v4, a10
	v_and_b32_e32 v3, 0x100, v54
	v_accvgpr_read_b32 v6, a12
	v_cmp_ne_u32_e32 vcc, 0, v3
	v_and_b32_e32 v3, 7, v6
	s_mov_b64 s[18:19], -1
	v_accvgpr_read_b32 v5, a11
	v_accvgpr_read_b32 v7, a13
                                        ; implicit-def: $vgpr10_vgpr11
	s_and_saveexec_b64 s[40:41], vcc
	s_cbranch_execz .LBB6_597
; %bb.594:                              ;   in Loop: Header=BB6_346 Depth=1
	v_accvgpr_read_b32 v4, a10
	v_accvgpr_read_b32 v5, a11
	v_mad_u64_u32 v[12:13], s[18:19], v3, 24, v[4:5]
	flat_load_dword v4, v[12:13]
	v_accvgpr_read_b32 v6, a12
	v_accvgpr_read_b32 v7, a13
                                        ; implicit-def: $vgpr10_vgpr11
	s_waitcnt vmcnt(0) lgkmcnt(0)
	v_cmp_ne_u32_e32 vcc, 1, v4
	v_cmp_eq_u32_e64 s[18:19], 1, v4
	s_and_saveexec_b64 s[42:43], s[18:19]
	s_cbranch_execz .LBB6_596
; %bb.595:                              ;   in Loop: Header=BB6_346 Depth=1
	flat_load_dword v4, v[12:13] offset:4 glc
	s_waitcnt vmcnt(0) lgkmcnt(0)
	v_ashrrev_i32_e32 v5, 31, v4
	v_lshrrev_b64 v[10:11], 1, v[4:5]
.LBB6_596:                              ;   in Loop: Header=BB6_346 Depth=1
	s_or_b64 exec, exec, s[42:43]
	s_orn2_b64 s[18:19], vcc, exec
.LBB6_597:                              ;   in Loop: Header=BB6_346 Depth=1
	s_or_b64 exec, exec, s[40:41]
	s_and_saveexec_b64 vcc, s[18:19]
; %bb.598:                              ;   in Loop: Header=BB6_346 Depth=1
	v_accvgpr_read_b32 v4, a14
	v_mad_i64_i32 v[10:11], s[18:19], v3, v4, 0
; %bb.599:                              ;   in Loop: Header=BB6_346 Depth=1
	s_or_b64 exec, exec, vcc
	v_lshlrev_b64 v[4:5], 1, v[10:11]
	v_add_co_u32_e32 v4, vcc, v34, v4
	v_addc_co_u32_e32 v5, vcc, v35, v5, vcc
	v_and_b32_e32 v3, 0x2000, v54
	v_cmp_ne_u32_e32 vcc, 0, v3
	ds_write_b64 v0, v[4:5] offset:728
	s_and_saveexec_b64 s[18:19], vcc
	s_cbranch_execz .LBB6_601
; %bb.600:                              ;   in Loop: Header=BB6_346 Depth=1
	ds_read_b64 v[4:5], v0 offset:584
	s_waitcnt lgkmcnt(0)
	v_add_co_u32_e32 v4, vcc, 1, v4
	v_addc_co_u32_e32 v5, vcc, 0, v5, vcc
	ds_write_b64 v0, v[4:5] offset:584
.LBB6_601:                              ;   in Loop: Header=BB6_346 Depth=1
	s_or_b64 exec, exec, s[18:19]
	v_accvgpr_read_b32 v4, a10
	v_accvgpr_read_b32 v6, a12
	;; [unrolled: 1-line block ×3, first 2 shown]
	v_add_co_u32_e32 v6, vcc, 1, v6
	v_addc_co_u32_e32 v7, vcc, 0, v7, vcc
	v_accvgpr_read_b32 v5, a11
	v_accvgpr_write_b32 a13, v7
	v_accvgpr_write_b32 a12, v6
	v_accvgpr_write_b32 a11, v5
	v_accvgpr_write_b32 a10, v4
	s_or_b64 exec, exec, s[36:37]
	s_and_saveexec_b64 s[18:19], s[10:11]
	s_cbranch_execz .LBB6_620
.LBB6_602:                              ;   in Loop: Header=BB6_346 Depth=1
	s_and_saveexec_b64 vcc, s[28:29]
	s_xor_b64 s[36:37], exec, vcc
	s_cbranch_execz .LBB6_617
; %bb.603:                              ;   in Loop: Header=BB6_346 Depth=1
	s_and_saveexec_b64 s[40:41], s[12:13]
	s_cbranch_execz .LBB6_616
; %bb.604:                              ;   in Loop: Header=BB6_346 Depth=1
	s_mov_b64 s[44:45], exec
	v_mbcnt_lo_u32_b32 v3, s44, 0
	v_mbcnt_hi_u32_b32 v3, s45, v3
	v_cmp_eq_u32_e32 vcc, 0, v3
	s_waitcnt vmcnt(0) lgkmcnt(0)
	buffer_wbinvl1_vol
	s_and_saveexec_b64 s[42:43], vcc
	s_cbranch_execz .LBB6_606
; %bb.605:                              ;   in Loop: Header=BB6_346 Depth=1
	s_bcnt1_i32_b64 vcc_lo, s[44:45]
	v_mov_b32_e32 v50, vcc_lo
	ds_add_u64 v0, v[50:51]
	s_trap 2
.LBB6_606:                              ;   in Loop: Header=BB6_346 Depth=1
	s_or_b64 exec, exec, s[42:43]
	s_trap 2
	ds_read_b64 v[4:5], v0
	v_add_co_u32_e32 v38, vcc, v38, v30
	v_addc_co_u32_e32 v39, vcc, 0, v39, vcc
	s_waitcnt lgkmcnt(0)
	v_cmp_lt_u64_e32 vcc, v[4:5], v[38:39]
	s_and_saveexec_b64 s[42:43], vcc
	s_cbranch_execz .LBB6_615
; %bb.607:                              ;   in Loop: Header=BB6_346 Depth=1
	s_mov_b32 s54, 0
	s_mov_b64 s[44:45], 0
                                        ; implicit-def: $sgpr46_sgpr47
                                        ; implicit-def: $sgpr48_sgpr49
	s_branch .LBB6_609
.LBB6_608:                              ;   in Loop: Header=BB6_609 Depth=2
	s_or_b64 exec, exec, s[52:53]
	s_and_b64 vcc, exec, vcc
	s_or_b64 s[44:45], vcc, s[44:45]
	s_andn2_b64 vcc, s[46:47], exec
	s_and_b64 s[46:47], s[48:49], exec
	s_or_b64 s[46:47], vcc, s[46:47]
	s_andn2_b64 exec, exec, s[44:45]
	s_cbranch_execz .LBB6_613
.LBB6_609:                              ;   Parent Loop BB6_346 Depth=1
                                        ; =>  This Inner Loop Header: Depth=2
	s_add_i32 s54, s54, 1
	s_cmpk_lg_i32 s54, 0x2710
	s_cselect_b64 s[50:51], -1, 0
	s_and_b64 vcc, exec, s[50:51]
                                        ; implicit-def: $sgpr52_sgpr53
	s_cbranch_vccnz .LBB6_611
; %bb.610:                              ;   in Loop: Header=BB6_609 Depth=2
	s_trap 2
	ds_read_b64 v[4:5], v0
	s_andn2_b64 s[50:51], s[50:51], exec
	s_mov_b32 s54, 0
	s_mov_b64 s[52:53], -1
	s_waitcnt lgkmcnt(0)
	flat_load_dword v3, v[4:5] glc
	s_waitcnt vmcnt(0) lgkmcnt(0)
	buffer_invl2
	buffer_wbinvl1_vol
	v_cmp_eq_u32_e32 vcc, 0, v3
	s_and_b64 vcc, vcc, exec
	s_or_b64 s[50:51], s[50:51], vcc
.LBB6_611:                              ;   in Loop: Header=BB6_609 Depth=2
	s_andn2_b64 s[48:49], s[48:49], exec
	s_and_b64 s[52:53], s[52:53], exec
	s_mov_b64 vcc, -1
	s_or_b64 s[48:49], s[48:49], s[52:53]
	s_and_saveexec_b64 s[52:53], s[50:51]
	s_cbranch_execz .LBB6_608
; %bb.612:                              ;   in Loop: Header=BB6_609 Depth=2
	s_sleep 1
	s_trap 2
	ds_read_b64 v[4:5], v0
	s_andn2_b64 s[48:49], s[48:49], exec
	s_waitcnt lgkmcnt(0)
	v_cmp_ge_u64_e32 vcc, v[4:5], v[38:39]
	s_orn2_b64 vcc, vcc, exec
	s_branch .LBB6_608
.LBB6_613:                              ;   in Loop: Header=BB6_346 Depth=1
	s_or_b64 exec, exec, s[44:45]
	s_and_saveexec_b64 vcc, s[46:47]
	s_xor_b64 vcc, exec, vcc
	s_cbranch_execz .LBB6_615
; %bb.614:                              ;   in Loop: Header=BB6_346 Depth=1
	v_mov_b32_e32 v3, 1
	ds_write_b32 v0, v3
	s_trap 2
.LBB6_615:                              ;   in Loop: Header=BB6_346 Depth=1
	s_or_b64 exec, exec, s[42:43]
	;;#ASMSTART
	s_wakeup
	;;#ASMEND
.LBB6_616:                              ;   in Loop: Header=BB6_346 Depth=1
	s_or_b64 exec, exec, s[40:41]
.LBB6_617:                              ;   in Loop: Header=BB6_346 Depth=1
	s_andn2_saveexec_b64 vcc, s[36:37]
	s_cbranch_execz .LBB6_619
; %bb.618:                              ;   in Loop: Header=BB6_346 Depth=1
	s_waitcnt vmcnt(0) lgkmcnt(0)
	buffer_wbinvl1_vol
	s_barrier
.LBB6_619:                              ;   in Loop: Header=BB6_346 Depth=1
	s_or_b64 exec, exec, vcc
.LBB6_620:                              ;   in Loop: Header=BB6_346 Depth=1
	s_or_b64 exec, exec, s[18:19]
	s_trap 2
	ds_read_b32 v3, v0
	v_sub_u32_e32 v1, v42, v1
	v_min_i32_e32 v1, v28, v1
	v_cmp_lt_i32_e32 vcc, 0, v1
	v_and_b32_e32 v1, 16, v54
	s_waitcnt lgkmcnt(0)
	v_readfirstlane_b32 s18, v3
	s_cmp_eq_u32 s18, 0
	s_cselect_b64 s[18:19], -1, 0
	s_and_b64 s[18:19], vcc, s[18:19]
	v_cmp_ne_u32_e32 vcc, 0, v1
	s_and_b64 vcc, vcc, s[18:19]
	s_and_saveexec_b64 s[18:19], vcc
	s_cbranch_execz .LBB6_622
; %bb.621:                              ;   in Loop: Header=BB6_346 Depth=1
	s_waitcnt vmcnt(0)
	buffer_wbinvl1_vol
.LBB6_622:                              ;   in Loop: Header=BB6_346 Depth=1
	s_or_b64 exec, exec, s[18:19]
	v_and_b32_e32 v1, 32, v54
	v_cmp_ne_u32_e32 vcc, 0, v1
	s_and_saveexec_b64 s[18:19], vcc
	s_cbranch_execz .LBB6_344
; %bb.623:                              ;   in Loop: Header=BB6_346 Depth=1
	v_accvgpr_read_b32 v4, a10
	v_accvgpr_read_b32 v6, a12
	;; [unrolled: 1-line block ×3, first 2 shown]
	v_add_co_u32_e32 v6, vcc, 1, v6
	v_addc_co_u32_e32 v7, vcc, 0, v7, vcc
	v_accvgpr_read_b32 v5, a11
	v_accvgpr_write_b32 a13, v7
	v_accvgpr_write_b32 a12, v6
	;; [unrolled: 1-line block ×4, first 2 shown]
	flat_store_dwordx2 v[32:33], v[6:7]
	s_branch .LBB6_344
.LBB6_624:
	s_or_b64 exec, exec, s[30:31]
	v_accvgpr_read_b32 v61, a9
	v_accvgpr_read_b32 v6, a10
	;; [unrolled: 1-line block ×9, first 2 shown]
.LBB6_625:
	s_or_b64 exec, exec, s[22:23]
.LBB6_626:
	s_or_b64 exec, exec, s[20:21]
                                        ; implicit-def: $vgpr52_vgpr53
                                        ; implicit-def: $vgpr44_vgpr45
                                        ; implicit-def: $agpr16_agpr17
                                        ; implicit-def: $agpr14
                                        ; implicit-def: $vgpr36_vgpr37
                                        ; implicit-def: $vgpr34_vgpr35
                                        ; implicit-def: $vgpr32_vgpr33
                                        ; implicit-def: $vgpr0
                                        ; implicit-def: $vgpr15
                                        ; implicit-def: $vgpr48_vgpr49
.LBB6_627:
	s_andn2_saveexec_b64 s[22:23], s[26:27]
	s_cbranch_execz .LBB6_800
; %bb.628:
	s_mov_b64 s[28:29], 0
	v_cmp_ne_u64_e32 vcc, 0, v[44:45]
	v_pk_mov_b32 v[38:39], 0, 0
	s_and_saveexec_b64 s[26:27], vcc
	s_cbranch_execz .LBB6_799
; %bb.629:
	v_and_b32_e32 v1, 63, v31
	v_cmp_eq_u32_e64 s[12:13], 0, v1
	v_ashrrev_i32_e32 v1, 31, v0
	v_lshrrev_b32_e32 v1, 26, v1
	v_add_u32_e32 v1, v0, v1
	v_and_b32_e32 v2, 0xffffffc0, v1
	s_waitcnt vmcnt(0)
	v_ashrrev_i32_e32 v11, 6, v1
	v_sub_u32_e32 v2, v0, v2
	v_lshlrev_b32_e32 v1, 11, v11
	v_lshrrev_b32_e32 v10, 6, v56
	v_lshl_add_u32 v14, v2, 4, v1
	v_mov_b32_e32 v1, 0xfffff800
	v_lshl_add_u32 v1, v10, 11, v1
	s_movk_i32 s18, 0x800
	v_ashrrev_i32_e32 v3, 31, v1
	v_add_co_u32_e64 v26, s[18:19], s18, v1
	v_addc_co_u32_e64 v27, s[18:19], 0, v3, s[18:19]
	v_lshlrev_b32_e32 v28, 10, v10
	v_add_u32_e32 v1, 0xfffffc00, v28
	s_movk_i32 s18, 0x400
	v_ashrrev_i32_e32 v3, 31, v1
	v_add_co_u32_e64 v29, s[18:19], s18, v1
	v_addc_co_u32_e64 v30, s[18:19], 0, v3, s[18:19]
	v_lshlrev_b32_e32 v57, 7, v10
	v_add_u32_e32 v1, 0xffffff80, v57
	s_movk_i32 s18, 0x80
	s_lshr_b32 s6, s62, 27
	v_ashrrev_i32_e32 v3, 31, v1
	v_add_co_u32_e64 v50, s[18:19], s18, v1
	s_waitcnt lgkmcnt(0)
	v_accvgpr_read_b32 v4, a16
	s_add_i32 s62, s62, s6
	v_cmp_eq_u32_e32 vcc, 64, v56
	v_addc_co_u32_e64 v51, s[18:19], 0, v3, s[18:19]
	v_accvgpr_read_b32 v5, a17
	v_pk_mov_b32 v[16:17], 0, 0
	v_accvgpr_write_b32 a0, v44
	s_ashr_i32 s58, s62, 5
	v_cmp_ge_i32_e64 s[6:7], v0, v56
	v_cmp_ne_u32_e64 s[10:11], 64, v56
	v_cmp_ne_u32_sdwa s[30:31], v58, v56 src0_sel:WORD_0 src1_sel:DWORD
	v_mov_b32_e32 v13, 0
	v_cmp_gt_i32_e64 s[14:15], 1, v2
	v_cmp_lt_i32_e64 s[16:17], v2, v15
	v_ashrrev_i32_e32 v15, 31, v14
	v_cmp_ne_u64_e64 s[18:19], 0, v[4:5]
	s_movk_i32 s59, 0x270e
	v_mov_b32_e32 v55, 1
	s_xor_b64 s[34:35], vcc, -1
	v_lshlrev_b64 v[18:19], 1, v[52:53]
	v_pk_mov_b32 v[38:39], v[16:17], v[16:17] op_sel:[0,1]
	v_accvgpr_write_b32 a1, v45
	s_trap 2
	s_branch .LBB6_633
.LBB6_630:                              ;   in Loop: Header=BB6_633 Depth=1
	s_or_b64 exec, exec, vcc
	v_add_co_u32_e32 v8, vcc, 1, v8
	v_addc_co_u32_e32 v9, vcc, 0, v9, vcc
	flat_store_dwordx2 v[32:33], v[8:9]
.LBB6_631:                              ;   in Loop: Header=BB6_633 Depth=1
	s_or_b64 exec, exec, s[20:21]
.LBB6_632:                              ;   in Loop: Header=BB6_633 Depth=1
	s_or_b64 exec, exec, s[38:39]
	v_add_co_u32_e32 v16, vcc, v16, v48
	v_addc_co_u32_e32 v17, vcc, 0, v17, vcc
	v_cmp_ge_u64_e32 vcc, v[16:17], v[44:45]
	s_or_b64 s[28:29], vcc, s[28:29]
	s_andn2_b64 exec, exec, s[28:29]
	s_cbranch_execz .LBB6_798
.LBB6_633:                              ; =>This Loop Header: Depth=1
                                        ;     Child Loop BB6_642 Depth 2
                                        ;     Child Loop BB6_666 Depth 2
	;; [unrolled: 1-line block ×10, first 2 shown]
	v_sub_co_u32_e32 v4, vcc, v44, v16
	v_subb_co_u32_e32 v5, vcc, v45, v17, vcc
	v_cmp_lt_u64_e32 vcc, v[48:49], v[4:5]
	v_cndmask_b32_e64 v21, v5, 0, vcc
	v_cndmask_b32_e32 v20, v4, v48, vcc
	v_add_u32_e32 v1, 15, v20
	v_cmp_eq_u64_e32 vcc, 0, v[20:21]
	v_and_b32_e32 v1, 0x3ffffff0, v1
	s_or_b64 s[36:37], s[6:7], vcc
	v_max_i32_e32 v52, s58, v1
	s_xor_b64 s[20:21], s[36:37], -1
	v_mov_b32_e32 v1, 0
	s_and_saveexec_b64 s[38:39], s[20:21]
	s_cbranch_execz .LBB6_751
; %bb.634:                              ;   in Loop: Header=BB6_633 Depth=1
	s_and_saveexec_b64 s[20:21], s[4:5]
	s_cbranch_execz .LBB6_636
; %bb.635:                              ;   in Loop: Header=BB6_633 Depth=1
	s_trap 2
	ds_read_b64 v[4:5], v0
	v_mov_b32_e32 v12, v13
	ds_write_b64 v0, v[12:13]
	s_waitcnt lgkmcnt(0)
	v_add_co_u32_e32 v1, vcc, v4, v18
	v_addc_co_u32_e32 v3, vcc, v5, v19, vcc
	v_lshlrev_b64 v[4:5], 1, v[16:17]
	v_add_co_u32_e32 v4, vcc, v1, v4
	v_addc_co_u32_e32 v5, vcc, v3, v5, vcc
	ds_write_b64 v0, v[4:5]
.LBB6_636:                              ;   in Loop: Header=BB6_633 Depth=1
	s_or_b64 exec, exec, s[20:21]
	v_and_b32_e32 v1, 8, v54
	v_cmp_ne_u32_e32 vcc, 0, v1
	s_mov_b64 s[40:41], -1
	s_and_saveexec_b64 s[20:21], vcc
	s_cbranch_execz .LBB6_648
; %bb.637:                              ;   in Loop: Header=BB6_633 Depth=1
	v_add_co_u32_e32 v4, vcc, 8, v36
	v_addc_co_u32_e32 v5, vcc, 0, v37, vcc
	v_add_co_u32_e32 v22, vcc, 1, v8
	v_addc_co_u32_e32 v23, vcc, 0, v9, vcc
	v_cmp_lt_u64_e32 vcc, v[4:5], v[22:23]
	v_mov_b32_e32 v1, 1
	s_and_saveexec_b64 s[40:41], vcc
	s_cbranch_execz .LBB6_647
; %bb.638:                              ;   in Loop: Header=BB6_633 Depth=1
	s_mov_b64 s[42:43], 0
	v_mov_b32_e32 v1, 0
                                        ; implicit-def: $sgpr44_sgpr45
	s_branch .LBB6_642
.LBB6_639:                              ;   in Loop: Header=BB6_642 Depth=2
	s_or_b64 exec, exec, s[52:53]
	v_mov_b32_e32 v3, 0
	s_orn2_b64 s[50:51], s[50:51], exec
.LBB6_640:                              ;   in Loop: Header=BB6_642 Depth=2
	s_or_b64 exec, exec, s[48:49]
	s_andn2_b64 vcc, s[44:45], exec
	s_and_b64 s[44:45], s[50:51], exec
	s_or_b64 s[44:45], vcc, s[44:45]
	v_mov_b32_e32 v1, v3
.LBB6_641:                              ;   in Loop: Header=BB6_642 Depth=2
	s_or_b64 exec, exec, s[46:47]
	s_waitcnt vmcnt(0) lgkmcnt(0)
	v_add_co_u32_e32 v4, vcc, 8, v36
	v_addc_co_u32_e32 v5, vcc, 0, v37, vcc
	v_cmp_ge_u64_e32 vcc, v[4:5], v[22:23]
	s_xor_b64 s[46:47], s[44:45], -1
	s_or_b64 vcc, s[46:47], vcc
	s_and_b64 vcc, exec, vcc
	s_or_b64 s[42:43], vcc, s[42:43]
	s_andn2_b64 exec, exec, s[42:43]
	s_cbranch_execz .LBB6_646
.LBB6_642:                              ;   Parent Loop BB6_633 Depth=1
                                        ; =>  This Inner Loop Header: Depth=2
	s_sleep 1
	flat_load_dwordx2 v[36:37], v[32:33] glc
	v_and_b32_e32 v3, 64, v54
	v_cmp_eq_u32_e32 vcc, 0, v3
	s_andn2_b64 s[44:45], s[44:45], exec
	s_and_saveexec_b64 s[46:47], vcc
	s_cbranch_execz .LBB6_641
; %bb.643:                              ;   in Loop: Header=BB6_642 Depth=2
	v_add_u32_e32 v3, 1, v1
	v_cmp_lt_i32_e32 vcc, s59, v1
	s_mov_b64 s[50:51], -1
	s_and_saveexec_b64 s[48:49], vcc
	s_cbranch_execz .LBB6_640
; %bb.644:                              ;   in Loop: Header=BB6_642 Depth=2
	s_trap 2
	ds_read_b64 v[4:5], v0
	s_waitcnt vmcnt(0) lgkmcnt(0)
	flat_load_dword v1, v[4:5] glc
	s_waitcnt vmcnt(0) lgkmcnt(0)
	buffer_invl2
	buffer_wbinvl1_vol
	v_cmp_ne_u32_e32 vcc, 0, v1
	s_and_saveexec_b64 s[52:53], vcc
	s_cbranch_execz .LBB6_639
; %bb.645:                              ;   in Loop: Header=BB6_642 Depth=2
	v_or_b32_e32 v54, 64, v54
	s_xor_b64 s[50:51], exec, -1
	ds_write_b32 v0, v1
	s_trap 2
	s_branch .LBB6_639
.LBB6_646:                              ;   in Loop: Header=BB6_633 Depth=1
	s_or_b64 exec, exec, s[42:43]
	v_and_b32_e32 v1, 8, v54
.LBB6_647:                              ;   in Loop: Header=BB6_633 Depth=1
	s_or_b64 exec, exec, s[40:41]
	v_cmp_eq_u32_e32 vcc, 0, v1
	s_orn2_b64 s[40:41], vcc, exec
	;;#ASMSTART
	s_wakeup
	;;#ASMEND
.LBB6_648:                              ;   in Loop: Header=BB6_633 Depth=1
	s_or_b64 exec, exec, s[20:21]
	s_xor_b64 s[20:21], s[40:41], -1
	v_min_u32_e32 v52, v52, v20
	s_and_saveexec_b64 s[40:41], s[20:21]
	s_cbranch_execz .LBB6_658
; %bb.649:                              ;   in Loop: Header=BB6_633 Depth=1
	v_and_b32_e32 v1, 0x100, v54
	v_cmp_ne_u32_e32 vcc, 0, v1
	v_and_b32_e32 v1, 7, v8
	s_mov_b64 s[20:21], -1
                                        ; implicit-def: $vgpr22_vgpr23
	s_and_saveexec_b64 s[42:43], vcc
	s_cbranch_execz .LBB6_653
; %bb.650:                              ;   in Loop: Header=BB6_633 Depth=1
	v_mad_u64_u32 v[24:25], s[20:21], v1, 24, v[6:7]
	flat_load_dword v3, v[24:25]
	v_lshlrev_b32_e32 v12, 1, v52
	flat_store_dwordx2 v[24:25], v[12:13] offset:8
                                        ; implicit-def: $vgpr22_vgpr23
	s_waitcnt vmcnt(0) lgkmcnt(0)
	v_cmp_ne_u32_e32 vcc, 1, v3
	v_cmp_eq_u32_e64 s[20:21], 1, v3
	s_and_saveexec_b64 s[44:45], s[20:21]
	s_cbranch_execz .LBB6_652
; %bb.651:                              ;   in Loop: Header=BB6_633 Depth=1
	flat_load_dword v4, v[24:25] offset:4 glc
	s_waitcnt vmcnt(0) lgkmcnt(0)
	v_ashrrev_i32_e32 v5, 31, v4
	v_lshrrev_b64 v[22:23], 1, v[4:5]
.LBB6_652:                              ;   in Loop: Header=BB6_633 Depth=1
	s_or_b64 exec, exec, s[44:45]
	s_orn2_b64 s[20:21], vcc, exec
.LBB6_653:                              ;   in Loop: Header=BB6_633 Depth=1
	s_or_b64 exec, exec, s[42:43]
	s_and_saveexec_b64 vcc, s[20:21]
; %bb.654:                              ;   in Loop: Header=BB6_633 Depth=1
	v_accvgpr_read_b32 v4, a14
	v_mad_i64_i32 v[22:23], s[20:21], v1, v4, 0
; %bb.655:                              ;   in Loop: Header=BB6_633 Depth=1
	s_or_b64 exec, exec, vcc
	v_lshlrev_b64 v[4:5], 1, v[22:23]
	v_add_co_u32_e32 v4, vcc, v34, v4
	v_addc_co_u32_e32 v5, vcc, v35, v5, vcc
	v_and_b32_e32 v1, 0x2000, v54
	v_cmp_ne_u32_e32 vcc, 0, v1
	ds_write_b64 v0, v[4:5] offset:784
	s_and_saveexec_b64 s[20:21], vcc
	s_cbranch_execz .LBB6_657
; %bb.656:                              ;   in Loop: Header=BB6_633 Depth=1
	ds_read_b64 v[4:5], v0 offset:584
	s_waitcnt lgkmcnt(0)
	v_add_co_u32_e32 v4, vcc, 1, v4
	v_addc_co_u32_e32 v5, vcc, 0, v5, vcc
	ds_write_b64 v0, v[4:5] offset:584
.LBB6_657:                              ;   in Loop: Header=BB6_633 Depth=1
	s_or_b64 exec, exec, s[20:21]
	v_add_co_u32_e32 v8, vcc, 1, v8
	v_addc_co_u32_e32 v9, vcc, 0, v9, vcc
.LBB6_658:                              ;   in Loop: Header=BB6_633 Depth=1
	s_or_b64 exec, exec, s[40:41]
	s_and_saveexec_b64 s[20:21], s[10:11]
	s_cbranch_execz .LBB6_677
; %bb.659:                              ;   in Loop: Header=BB6_633 Depth=1
	s_and_saveexec_b64 vcc, s[30:31]
	s_xor_b64 s[40:41], exec, vcc
	s_cbranch_execz .LBB6_674
; %bb.660:                              ;   in Loop: Header=BB6_633 Depth=1
	s_and_saveexec_b64 s[42:43], s[12:13]
	s_cbranch_execz .LBB6_673
; %bb.661:                              ;   in Loop: Header=BB6_633 Depth=1
	s_mov_b64 s[46:47], exec
	v_mbcnt_lo_u32_b32 v1, s46, 0
	v_mbcnt_hi_u32_b32 v1, s47, v1
	v_cmp_eq_u32_e32 vcc, 0, v1
	s_waitcnt vmcnt(0) lgkmcnt(0)
	buffer_wbinvl1_vol
	s_and_saveexec_b64 s[44:45], vcc
	s_cbranch_execz .LBB6_663
; %bb.662:                              ;   in Loop: Header=BB6_633 Depth=1
	s_bcnt1_i32_b64 vcc_lo, s[46:47]
	v_mov_b32_e32 v12, vcc_lo
	ds_add_u64 v0, v[12:13]
	s_trap 2
.LBB6_663:                              ;   in Loop: Header=BB6_633 Depth=1
	s_or_b64 exec, exec, s[44:45]
	s_trap 2
	ds_read_b64 v[4:5], v0
	v_add_co_u32_e32 v38, vcc, v38, v10
	v_addc_co_u32_e32 v39, vcc, 0, v39, vcc
	s_waitcnt lgkmcnt(0)
	v_cmp_lt_u64_e32 vcc, v[4:5], v[38:39]
	s_and_saveexec_b64 s[44:45], vcc
	s_cbranch_execz .LBB6_672
; %bb.664:                              ;   in Loop: Header=BB6_633 Depth=1
	s_mov_b32 s56, 0
	s_mov_b64 s[46:47], 0
                                        ; implicit-def: $sgpr48_sgpr49
                                        ; implicit-def: $sgpr50_sgpr51
	s_branch .LBB6_666
.LBB6_665:                              ;   in Loop: Header=BB6_666 Depth=2
	s_or_b64 exec, exec, s[54:55]
	s_and_b64 vcc, exec, vcc
	s_or_b64 s[46:47], vcc, s[46:47]
	s_andn2_b64 vcc, s[48:49], exec
	s_and_b64 s[48:49], s[50:51], exec
	s_or_b64 s[48:49], vcc, s[48:49]
	s_andn2_b64 exec, exec, s[46:47]
	s_cbranch_execz .LBB6_670
.LBB6_666:                              ;   Parent Loop BB6_633 Depth=1
                                        ; =>  This Inner Loop Header: Depth=2
	s_add_i32 s56, s56, 1
	s_cmpk_lg_i32 s56, 0x2710
	s_cselect_b64 s[52:53], -1, 0
	s_and_b64 vcc, exec, s[52:53]
                                        ; implicit-def: $sgpr54_sgpr55
	s_cbranch_vccnz .LBB6_668
; %bb.667:                              ;   in Loop: Header=BB6_666 Depth=2
	s_trap 2
	ds_read_b64 v[4:5], v0
	s_andn2_b64 s[52:53], s[52:53], exec
	s_mov_b32 s56, 0
	s_mov_b64 s[54:55], -1
	s_waitcnt lgkmcnt(0)
	flat_load_dword v1, v[4:5] glc
	s_waitcnt vmcnt(0) lgkmcnt(0)
	buffer_invl2
	buffer_wbinvl1_vol
	v_cmp_eq_u32_e32 vcc, 0, v1
	s_and_b64 vcc, vcc, exec
	s_or_b64 s[52:53], s[52:53], vcc
.LBB6_668:                              ;   in Loop: Header=BB6_666 Depth=2
	s_andn2_b64 s[50:51], s[50:51], exec
	s_and_b64 s[54:55], s[54:55], exec
	s_mov_b64 vcc, -1
	s_or_b64 s[50:51], s[50:51], s[54:55]
	s_and_saveexec_b64 s[54:55], s[52:53]
	s_cbranch_execz .LBB6_665
; %bb.669:                              ;   in Loop: Header=BB6_666 Depth=2
	s_sleep 1
	s_trap 2
	ds_read_b64 v[4:5], v0
	s_andn2_b64 s[50:51], s[50:51], exec
	s_waitcnt lgkmcnt(0)
	v_cmp_ge_u64_e32 vcc, v[4:5], v[38:39]
	s_orn2_b64 vcc, vcc, exec
	s_branch .LBB6_665
.LBB6_670:                              ;   in Loop: Header=BB6_633 Depth=1
	s_or_b64 exec, exec, s[46:47]
	s_and_saveexec_b64 vcc, s[48:49]
	s_xor_b64 vcc, exec, vcc
	s_cbranch_execz .LBB6_672
; %bb.671:                              ;   in Loop: Header=BB6_633 Depth=1
	ds_write_b32 v0, v55
	s_trap 2
.LBB6_672:                              ;   in Loop: Header=BB6_633 Depth=1
	s_or_b64 exec, exec, s[44:45]
	;;#ASMSTART
	s_wakeup
	;;#ASMEND
.LBB6_673:                              ;   in Loop: Header=BB6_633 Depth=1
	s_or_b64 exec, exec, s[42:43]
.LBB6_674:                              ;   in Loop: Header=BB6_633 Depth=1
	s_andn2_saveexec_b64 vcc, s[40:41]
	s_cbranch_execz .LBB6_676
; %bb.675:                              ;   in Loop: Header=BB6_633 Depth=1
	s_waitcnt vmcnt(0) lgkmcnt(0)
	buffer_wbinvl1_vol
	s_barrier
.LBB6_676:                              ;   in Loop: Header=BB6_633 Depth=1
	s_or_b64 exec, exec, vcc
.LBB6_677:                              ;   in Loop: Header=BB6_633 Depth=1
	s_or_b64 exec, exec, s[20:21]
	s_trap 2
	ds_read_b32 v1, v0
	v_and_b32_e32 v3, 0x4000, v54
	v_cmp_ne_u32_e32 vcc, 0, v3
	s_and_b64 vcc, s[34:35], vcc
	s_and_saveexec_b64 s[20:21], vcc
	s_cbranch_execz .LBB6_696
; %bb.678:                              ;   in Loop: Header=BB6_633 Depth=1
	s_and_saveexec_b64 vcc, s[30:31]
	s_xor_b64 s[40:41], exec, vcc
	s_cbranch_execz .LBB6_693
; %bb.679:                              ;   in Loop: Header=BB6_633 Depth=1
	s_and_saveexec_b64 s[42:43], s[12:13]
	s_cbranch_execz .LBB6_692
; %bb.680:                              ;   in Loop: Header=BB6_633 Depth=1
	s_mov_b64 s[46:47], exec
	v_mbcnt_lo_u32_b32 v3, s46, 0
	v_mbcnt_hi_u32_b32 v3, s47, v3
	v_cmp_eq_u32_e32 vcc, 0, v3
	s_waitcnt vmcnt(0) lgkmcnt(0)
	buffer_wbinvl1_vol
	s_and_saveexec_b64 s[44:45], vcc
	s_cbranch_execz .LBB6_682
; %bb.681:                              ;   in Loop: Header=BB6_633 Depth=1
	s_bcnt1_i32_b64 vcc_lo, s[46:47]
	v_mov_b32_e32 v12, vcc_lo
	ds_add_u64 v0, v[12:13]
	s_trap 2
.LBB6_682:                              ;   in Loop: Header=BB6_633 Depth=1
	s_or_b64 exec, exec, s[44:45]
	s_trap 2
	ds_read_b64 v[4:5], v0
	v_add_co_u32_e32 v38, vcc, v38, v10
	v_addc_co_u32_e32 v39, vcc, 0, v39, vcc
	s_waitcnt lgkmcnt(0)
	v_cmp_lt_u64_e32 vcc, v[4:5], v[38:39]
	s_and_saveexec_b64 s[44:45], vcc
	s_cbranch_execz .LBB6_691
; %bb.683:                              ;   in Loop: Header=BB6_633 Depth=1
	s_mov_b32 s56, 0
	s_mov_b64 s[46:47], 0
                                        ; implicit-def: $sgpr48_sgpr49
                                        ; implicit-def: $sgpr50_sgpr51
	s_branch .LBB6_685
.LBB6_684:                              ;   in Loop: Header=BB6_685 Depth=2
	s_or_b64 exec, exec, s[54:55]
	s_and_b64 vcc, exec, vcc
	s_or_b64 s[46:47], vcc, s[46:47]
	s_andn2_b64 vcc, s[48:49], exec
	s_and_b64 s[48:49], s[50:51], exec
	s_or_b64 s[48:49], vcc, s[48:49]
	s_andn2_b64 exec, exec, s[46:47]
	s_cbranch_execz .LBB6_689
.LBB6_685:                              ;   Parent Loop BB6_633 Depth=1
                                        ; =>  This Inner Loop Header: Depth=2
	s_add_i32 s56, s56, 1
	s_cmpk_lg_i32 s56, 0x2710
	s_cselect_b64 s[52:53], -1, 0
	s_and_b64 vcc, exec, s[52:53]
                                        ; implicit-def: $sgpr54_sgpr55
	s_cbranch_vccnz .LBB6_687
; %bb.686:                              ;   in Loop: Header=BB6_685 Depth=2
	s_trap 2
	ds_read_b64 v[4:5], v0
	s_andn2_b64 s[52:53], s[52:53], exec
	s_mov_b32 s56, 0
	s_mov_b64 s[54:55], -1
	s_waitcnt lgkmcnt(0)
	flat_load_dword v3, v[4:5] glc
	s_waitcnt vmcnt(0) lgkmcnt(0)
	buffer_invl2
	buffer_wbinvl1_vol
	v_cmp_eq_u32_e32 vcc, 0, v3
	s_and_b64 vcc, vcc, exec
	s_or_b64 s[52:53], s[52:53], vcc
.LBB6_687:                              ;   in Loop: Header=BB6_685 Depth=2
	s_andn2_b64 s[50:51], s[50:51], exec
	s_and_b64 s[54:55], s[54:55], exec
	s_mov_b64 vcc, -1
	s_or_b64 s[50:51], s[50:51], s[54:55]
	s_and_saveexec_b64 s[54:55], s[52:53]
	s_cbranch_execz .LBB6_684
; %bb.688:                              ;   in Loop: Header=BB6_685 Depth=2
	s_sleep 1
	s_trap 2
	ds_read_b64 v[4:5], v0
	s_andn2_b64 s[50:51], s[50:51], exec
	s_waitcnt lgkmcnt(0)
	v_cmp_ge_u64_e32 vcc, v[4:5], v[38:39]
	s_orn2_b64 vcc, vcc, exec
	s_branch .LBB6_684
.LBB6_689:                              ;   in Loop: Header=BB6_633 Depth=1
	s_or_b64 exec, exec, s[46:47]
	s_and_saveexec_b64 vcc, s[48:49]
	s_xor_b64 vcc, exec, vcc
	s_cbranch_execz .LBB6_691
; %bb.690:                              ;   in Loop: Header=BB6_633 Depth=1
	ds_write_b32 v0, v55
	s_trap 2
.LBB6_691:                              ;   in Loop: Header=BB6_633 Depth=1
	s_or_b64 exec, exec, s[44:45]
	;;#ASMSTART
	s_wakeup
	;;#ASMEND
.LBB6_692:                              ;   in Loop: Header=BB6_633 Depth=1
	s_or_b64 exec, exec, s[42:43]
.LBB6_693:                              ;   in Loop: Header=BB6_633 Depth=1
	s_andn2_saveexec_b64 vcc, s[40:41]
	s_cbranch_execz .LBB6_695
; %bb.694:                              ;   in Loop: Header=BB6_633 Depth=1
	s_waitcnt vmcnt(0) lgkmcnt(0)
	buffer_wbinvl1_vol
	s_barrier
.LBB6_695:                              ;   in Loop: Header=BB6_633 Depth=1
	s_or_b64 exec, exec, vcc
.LBB6_696:                              ;   in Loop: Header=BB6_633 Depth=1
	s_or_b64 exec, exec, s[20:21]
	s_trap 2
	ds_read_b64 v[4:5], v0
	s_waitcnt lgkmcnt(0)
	v_readfirstlane_b32 s20, v4
	v_readfirstlane_b32 s21, v5
	s_cmp_eq_u64 s[20:21], 0
	s_cselect_b64 s[20:21], -1, 0
	s_or_b64 vcc, s[20:21], s[20:21]
	s_mov_b64 s[20:21], 0
	s_and_b64 vcc, exec, vcc
	s_cbranch_vccnz .LBB6_725
; %bb.697:                              ;   in Loop: Header=BB6_633 Depth=1
	s_mov_b64 s[20:21], -1
	s_and_saveexec_b64 s[40:41], s[14:15]
	s_cbranch_execz .LBB6_699
; %bb.698:                              ;   in Loop: Header=BB6_633 Depth=1
	ds_read_b32 v3, v0 offset:720
	s_waitcnt lgkmcnt(0)
	v_and_b32_e32 v3, 15, v3
	v_cmp_eq_u32_e32 vcc, 0, v3
	s_orn2_b64 s[20:21], vcc, exec
.LBB6_699:                              ;   in Loop: Header=BB6_633 Depth=1
	s_or_b64 exec, exec, s[40:41]
	s_and_saveexec_b64 s[40:41], s[16:17]
	s_cbranch_execz .LBB6_701
; %bb.700:                              ;   in Loop: Header=BB6_633 Depth=1
	ds_read_b32 v3, v0 offset:784
	s_waitcnt lgkmcnt(0)
	v_and_b32_e32 v3, 15, v3
	v_cmp_eq_u32_e32 vcc, 0, v3
	s_and_b64 vcc, s[20:21], vcc
	s_andn2_b64 s[20:21], s[20:21], exec
	s_and_b64 vcc, vcc, exec
	s_or_b64 s[20:21], s[20:21], vcc
.LBB6_701:                              ;   in Loop: Header=BB6_633 Depth=1
	s_or_b64 exec, exec, s[40:41]
	v_cmp_eq_u32_e32 vcc, 0, v1
	s_xor_b64 s[20:21], s[20:21], -1
	v_cndmask_b32_e32 v1, 0, v52, vcc
	v_cndmask_b32_e64 v3, 0, 1, s[20:21]
	v_accvgpr_write_b32 a2, v6
	v_mov_b32_e32 v53, 0
	v_lshlrev_b32_e32 v21, 1, v1
	s_mov_b64 s[42:43], -1
	;;#ASMSTART
	;;#ASMEND
	v_accvgpr_write_b32 a3, v7
	v_accvgpr_write_b32 a4, v8
	v_accvgpr_write_b32 a5, v9
	v_cmp_ne_u32_e32 vcc, 0, v3
	s_cbranch_vccz .LBB6_703
; %bb.702:                              ;   in Loop: Header=BB6_633 Depth=1
	v_mov_b32_e32 v40, v0
	v_mov_b32_e32 v3, v11
	s_and_saveexec_b64 s[20:21], s[42:43]
	s_cbranch_execnz .LBB6_716
	s_branch .LBB6_724
.LBB6_703:                              ;   in Loop: Header=BB6_633 Depth=1
	v_lshrrev_b32_e32 v3, 10, v1
	v_sub_u32_e32 v12, v3, v11
	v_cmp_lt_i32_e32 vcc, 0, v12
	s_and_saveexec_b64 s[20:21], vcc
	s_cbranch_execz .LBB6_707
; %bb.704:                              ;   in Loop: Header=BB6_633 Depth=1
	s_trap 2
	ds_read_b64 v[22:23], v0
	s_mov_b64 s[40:41], 0
	v_pk_mov_b32 v[24:25], v[14:15], v[14:15] op_sel:[0,1]
.LBB6_705:                              ;   Parent Loop BB6_633 Depth=1
                                        ; =>  This Inner Loop Header: Depth=2
	s_waitcnt lgkmcnt(0)
	v_add_co_u32_e32 v4, vcc, v22, v24
	v_addc_co_u32_e32 v5, vcc, v23, v25, vcc
	global_load_dwordx4 v[40:43], v[4:5], off glc slc
	global_load_dwordx4 v[44:47], v[4:5], off offset:1024 glc slc
	v_add_co_u32_e32 v24, vcc, v24, v26
	v_sub_u32_e32 v12, v12, v10
	v_addc_co_u32_e32 v25, vcc, v25, v27, vcc
	v_cmp_gt_i32_e32 vcc, 1, v12
	s_or_b64 s[40:41], vcc, s[40:41]
	s_waitcnt vmcnt(0)
	global_store_dwordx4 v[4:5], v[40:43], off glc slc
	s_waitcnt vmcnt(1)
	global_store_dwordx4 v[4:5], v[44:47], off offset:1024 glc slc
	s_andn2_b64 exec, exec, s[40:41]
	s_cbranch_execnz .LBB6_705
; %bb.706:                              ;   in Loop: Header=BB6_633 Depth=1
	s_or_b64 exec, exec, s[40:41]
	v_accvgpr_read_b32 v45, a1
	v_accvgpr_read_b32 v44, a0
.LBB6_707:                              ;   in Loop: Header=BB6_633 Depth=1
	s_or_b64 exec, exec, s[20:21]
	v_lshlrev_b32_e32 v24, 11, v3
	v_cmp_ne_u32_e32 vcc, v21, v24
	s_mov_b64 s[42:43], 0
	v_mov_b32_e32 v53, 0
                                        ; implicit-def: $vgpr40
                                        ; implicit-def: $vgpr3
	s_and_saveexec_b64 s[40:41], vcc
	s_cbranch_execz .LBB6_715
; %bb.708:                              ;   in Loop: Header=BB6_633 Depth=1
	v_lshlrev_b32_e32 v3, 6, v12
	v_sub_u32_e32 v3, v2, v3
	v_ashrrev_i32_e32 v5, 31, v3
	v_lshrrev_b32_e32 v5, 26, v5
	v_add_u32_e32 v5, v3, v5
	v_sub_u32_e32 v4, v21, v24
	v_ashrrev_i32_e32 v6, 6, v5
	v_and_b32_e32 v5, 0xffffffc0, v5
	v_sub_u32_e32 v25, v3, v5
	v_ashrrev_i32_e32 v5, 31, v4
	v_lshrrev_b32_e32 v5, 22, v5
	v_add_u32_e32 v5, v4, v5
	v_and_b32_e32 v41, 0xfffffc00, v5
	v_lshlrev_b32_e32 v3, 4, v25
	v_sub_u32_e32 v43, v4, v41
	v_lshl_add_u32 v3, v6, 10, v3
	v_ashrrev_i32_e32 v7, 10, v5
	v_cmp_lt_i32_e32 vcc, 15, v43
	v_sub_u32_e32 v53, v4, v3
	v_addc_co_u32_e64 v4, s[20:21], 0, v7, vcc
	v_sub_u32_e32 v42, v4, v6
	v_cmp_lt_i32_e64 s[20:21], 15, v53
	s_and_saveexec_b64 s[42:43], s[20:21]
	s_cbranch_execz .LBB6_712
; %bb.709:                              ;   in Loop: Header=BB6_633 Depth=1
	s_trap 2
	ds_read_b64 v[22:23], v0
	v_add_u32_e32 v12, v3, v24
	v_ashrrev_i32_e32 v3, 31, v12
	s_mov_b64 s[44:45], 0
.LBB6_710:                              ;   Parent Loop BB6_633 Depth=1
                                        ; =>  This Inner Loop Header: Depth=2
	s_waitcnt lgkmcnt(0)
	v_add_co_u32_e64 v4, s[20:21], v22, v12
	v_addc_co_u32_e64 v5, s[20:21], v23, v3, s[20:21]
	global_load_dwordx4 v[44:47], v[4:5], off glc slc
	v_add_co_u32_e64 v12, s[20:21], v12, v29
	v_sub_u32_e32 v53, v53, v28
	v_addc_co_u32_e64 v3, s[20:21], v3, v30, s[20:21]
	v_cmp_gt_i32_e64 s[20:21], 16, v53
	v_sub_u32_e32 v42, v42, v10
	s_or_b64 s[44:45], s[20:21], s[44:45]
	s_waitcnt vmcnt(0)
	global_store_dwordx4 v[4:5], v[44:47], off glc slc
	s_andn2_b64 exec, exec, s[44:45]
	s_cbranch_execnz .LBB6_710
; %bb.711:                              ;   in Loop: Header=BB6_633 Depth=1
	s_or_b64 exec, exec, s[44:45]
	v_accvgpr_read_b32 v45, a1
	v_accvgpr_read_b32 v44, a0
.LBB6_712:                              ;   in Loop: Header=BB6_633 Depth=1
	s_or_b64 exec, exec, s[42:43]
	v_and_b32_e32 v12, 14, v21
	v_cndmask_b32_e32 v21, v43, v12, vcc
	v_cmp_ne_u32_e64 s[20:21], 0, v21
	s_mov_b64 s[42:43], 0
	v_mov_b32_e32 v53, 0
                                        ; implicit-def: $vgpr40
                                        ; implicit-def: $vgpr3
	s_and_saveexec_b64 s[44:45], s[20:21]
	s_cbranch_execz .LBB6_714
; %bb.713:                              ;   in Loop: Header=BB6_633 Depth=1
	v_sub_u32_e32 v3, v43, v12
	v_cndmask_b32_e32 v3, 0, v3, vcc
	v_cmp_lt_i32_e32 vcc, 0, v42
	v_add3_u32 v53, v41, v24, v3
	v_cndmask_b32_e32 v3, 0, v10, vcc
	v_sub_u32_e32 v3, v3, v42
	v_lshl_add_u32 v40, v3, 6, v25
	v_ashrrev_i32_e32 v3, 31, v40
	v_lshrrev_b32_e32 v3, 26, v3
	v_add_u32_e32 v3, v40, v3
	s_mov_b64 s[42:43], exec
	v_ashrrev_i32_e32 v3, 6, v3
.LBB6_714:                              ;   in Loop: Header=BB6_633 Depth=1
	s_or_b64 exec, exec, s[44:45]
	s_and_b64 s[42:43], s[42:43], exec
.LBB6_715:                              ;   in Loop: Header=BB6_633 Depth=1
	s_or_b64 exec, exec, s[40:41]
	s_and_saveexec_b64 s[20:21], s[42:43]
	s_cbranch_execz .LBB6_724
.LBB6_716:                              ;   in Loop: Header=BB6_633 Depth=1
	v_ashrrev_i32_e32 v4, 31, v21
	v_lshrrev_b32_e32 v4, 22, v4
	v_add_u32_e32 v4, v21, v4
	v_ashrrev_i32_e32 v43, 10, v4
	v_sub_u32_e32 v41, v43, v3
	v_ashrrev_i32_e32 v4, 31, v40
	v_cmp_lt_i32_e32 vcc, 0, v41
	v_lshrrev_b32_e32 v42, 26, v4
	s_and_saveexec_b64 s[40:41], vcc
	s_cbranch_execz .LBB6_720
; %bb.717:                              ;   in Loop: Header=BB6_633 Depth=1
	s_trap 2
	ds_read_b64 v[22:23], v0
	v_add_u32_e32 v4, v40, v42
	v_and_b32_e32 v4, 0x7fffffc0, v4
	v_sub_u32_e32 v4, v40, v4
	v_lshlrev_b32_e32 v4, 1, v4
	v_lshlrev_b32_e32 v3, 10, v3
	v_add3_u32 v12, v4, v53, v3
	v_ashrrev_i32_e32 v3, 31, v12
	s_mov_b64 s[42:43], 0
	s_waitcnt lgkmcnt(0)
	v_pk_mov_b32 v[24:25], v[22:23], v[22:23] op_sel:[0,1]
.LBB6_718:                              ;   Parent Loop BB6_633 Depth=1
                                        ; =>  This Inner Loop Header: Depth=2
	v_add_co_u32_e32 v4, vcc, v12, v24
	v_addc_co_u32_e32 v5, vcc, v3, v25, vcc
	flat_load_ushort v6, v[4:5] glc slc
	flat_load_ushort v7, v[4:5] offset:128 glc slc
	flat_load_ushort v8, v[4:5] offset:256 glc slc
	;; [unrolled: 1-line block ×7, first 2 shown]
	v_add_co_u32_e32 v4, vcc, v12, v22
	v_addc_co_u32_e32 v5, vcc, v3, v23, vcc
	v_add_co_u32_e32 v24, vcc, v24, v29
	v_addc_co_u32_e32 v25, vcc, v25, v30, vcc
	v_add_co_u32_e32 v22, vcc, v22, v29
	v_sub_u32_e32 v41, v41, v10
	v_addc_co_u32_e32 v23, vcc, v23, v30, vcc
	v_cmp_gt_i32_e32 vcc, 1, v41
	s_or_b64 s[42:43], vcc, s[42:43]
	s_waitcnt vmcnt(0) lgkmcnt(0)
	flat_store_short v[4:5], v6 glc slc
	flat_store_short v[4:5], v7 offset:128 glc slc
	flat_store_short v[4:5], v8 offset:256 glc slc
	;; [unrolled: 1-line block ×7, first 2 shown]
	s_andn2_b64 exec, exec, s[42:43]
	s_cbranch_execnz .LBB6_718
; %bb.719:                              ;   in Loop: Header=BB6_633 Depth=1
	s_or_b64 exec, exec, s[42:43]
	v_accvgpr_read_b32 v45, a1
	v_accvgpr_read_b32 v44, a0
.LBB6_720:                              ;   in Loop: Header=BB6_633 Depth=1
	s_or_b64 exec, exec, s[40:41]
	v_lshlrev_b32_e32 v3, 10, v43
	v_cmp_ne_u32_e32 vcc, v21, v3
	s_and_b64 exec, exec, vcc
	s_cbranch_execz .LBB6_724
; %bb.721:                              ;   in Loop: Header=BB6_633 Depth=1
	v_add_u32_e32 v4, v40, v42
	v_and_b32_e32 v4, 0xffffffc0, v4
	v_sub_u32_e32 v4, v40, v4
	v_lshlrev_b32_e32 v5, 6, v41
	v_sub_u32_e32 v4, v4, v5
	v_ashrrev_i32_e32 v5, 31, v4
	v_lshrrev_b32_e32 v5, 26, v5
	v_add_u32_e32 v5, v4, v5
	v_and_b32_e32 v6, 0x7fffffc0, v5
	v_sub_u32_e32 v4, v4, v6
	v_lshlrev_b32_e32 v5, 1, v5
	v_and_b32_e32 v5, 0xffffff80, v5
	v_lshlrev_b32_e32 v4, 1, v4
	v_add3_u32 v3, v5, v4, v3
	v_sub_u32_e32 v21, v21, v3
	v_cmp_lt_i32_e32 vcc, 1, v21
	s_and_b64 exec, exec, vcc
	s_cbranch_execz .LBB6_724
; %bb.722:                              ;   in Loop: Header=BB6_633 Depth=1
	s_trap 2
	ds_read_b64 v[22:23], v0
	v_add_u32_e32 v12, v3, v53
	v_ashrrev_i32_e32 v3, 31, v12
	s_mov_b64 s[40:41], 0
.LBB6_723:                              ;   Parent Loop BB6_633 Depth=1
                                        ; =>  This Inner Loop Header: Depth=2
	s_waitcnt lgkmcnt(0)
	v_add_co_u32_e32 v4, vcc, v22, v12
	v_addc_co_u32_e32 v5, vcc, v23, v3, vcc
	flat_load_ushort v6, v[4:5] glc slc
	v_add_co_u32_e32 v12, vcc, v12, v50
	v_sub_u32_e32 v21, v21, v57
	v_addc_co_u32_e32 v3, vcc, v3, v51, vcc
	v_cmp_gt_i32_e32 vcc, 2, v21
	s_or_b64 s[40:41], vcc, s[40:41]
	s_waitcnt vmcnt(0) lgkmcnt(0)
	flat_store_short v[4:5], v6 glc slc
	s_andn2_b64 exec, exec, s[40:41]
	s_cbranch_execnz .LBB6_723
.LBB6_724:                              ;   in Loop: Header=BB6_633 Depth=1
	s_or_b64 exec, exec, s[20:21]
	v_accvgpr_read_b32 v9, a5
	v_cmp_ne_u32_e64 s[20:21], 0, v1
	v_accvgpr_read_b32 v8, a4
	v_accvgpr_read_b32 v7, a3
	;; [unrolled: 1-line block ×3, first 2 shown]
.LBB6_725:                              ;   in Loop: Header=BB6_633 Depth=1
	s_and_saveexec_b64 s[40:41], s[10:11]
	s_cbranch_execz .LBB6_744
; %bb.726:                              ;   in Loop: Header=BB6_633 Depth=1
	s_and_saveexec_b64 vcc, s[30:31]
	s_xor_b64 s[42:43], exec, vcc
	s_cbranch_execz .LBB6_741
; %bb.727:                              ;   in Loop: Header=BB6_633 Depth=1
	s_and_saveexec_b64 s[44:45], s[12:13]
	s_cbranch_execz .LBB6_740
; %bb.728:                              ;   in Loop: Header=BB6_633 Depth=1
	s_mov_b64 s[48:49], exec
	v_mbcnt_lo_u32_b32 v1, s48, 0
	v_mbcnt_hi_u32_b32 v1, s49, v1
	v_cmp_eq_u32_e32 vcc, 0, v1
	s_waitcnt vmcnt(0) lgkmcnt(0)
	buffer_wbinvl1_vol
	s_and_saveexec_b64 s[46:47], vcc
	s_cbranch_execz .LBB6_730
; %bb.729:                              ;   in Loop: Header=BB6_633 Depth=1
	s_bcnt1_i32_b64 vcc_lo, s[48:49]
	v_mov_b32_e32 v12, vcc_lo
	ds_add_u64 v0, v[12:13]
	s_trap 2
.LBB6_730:                              ;   in Loop: Header=BB6_633 Depth=1
	s_or_b64 exec, exec, s[46:47]
	s_trap 2
	ds_read_b64 v[4:5], v0
	v_add_co_u32_e32 v38, vcc, v38, v10
	v_addc_co_u32_e32 v39, vcc, 0, v39, vcc
	s_waitcnt lgkmcnt(0)
	v_cmp_lt_u64_e32 vcc, v[4:5], v[38:39]
	s_and_saveexec_b64 s[46:47], vcc
	s_cbranch_execz .LBB6_739
; %bb.731:                              ;   in Loop: Header=BB6_633 Depth=1
	s_mov_b32 s60, 0
	s_mov_b64 s[48:49], 0
                                        ; implicit-def: $sgpr50_sgpr51
                                        ; implicit-def: $sgpr52_sgpr53
	s_branch .LBB6_733
.LBB6_732:                              ;   in Loop: Header=BB6_733 Depth=2
	s_or_b64 exec, exec, s[56:57]
	s_and_b64 vcc, exec, vcc
	s_or_b64 s[48:49], vcc, s[48:49]
	s_andn2_b64 vcc, s[50:51], exec
	s_and_b64 s[50:51], s[52:53], exec
	s_or_b64 s[50:51], vcc, s[50:51]
	s_andn2_b64 exec, exec, s[48:49]
	s_cbranch_execz .LBB6_737
.LBB6_733:                              ;   Parent Loop BB6_633 Depth=1
                                        ; =>  This Inner Loop Header: Depth=2
	s_add_i32 s60, s60, 1
	s_cmpk_lg_i32 s60, 0x2710
	s_cselect_b64 s[54:55], -1, 0
	s_and_b64 vcc, exec, s[54:55]
                                        ; implicit-def: $sgpr56_sgpr57
	s_cbranch_vccnz .LBB6_735
; %bb.734:                              ;   in Loop: Header=BB6_733 Depth=2
	s_trap 2
	ds_read_b64 v[4:5], v0
	s_andn2_b64 s[54:55], s[54:55], exec
	s_mov_b32 s60, 0
	s_mov_b64 s[56:57], -1
	s_waitcnt lgkmcnt(0)
	flat_load_dword v1, v[4:5] glc
	s_waitcnt vmcnt(0) lgkmcnt(0)
	buffer_invl2
	buffer_wbinvl1_vol
	v_cmp_eq_u32_e32 vcc, 0, v1
	s_and_b64 vcc, vcc, exec
	s_or_b64 s[54:55], s[54:55], vcc
.LBB6_735:                              ;   in Loop: Header=BB6_733 Depth=2
	s_andn2_b64 s[52:53], s[52:53], exec
	s_and_b64 s[56:57], s[56:57], exec
	s_mov_b64 vcc, -1
	s_or_b64 s[52:53], s[52:53], s[56:57]
	s_and_saveexec_b64 s[56:57], s[54:55]
	s_cbranch_execz .LBB6_732
; %bb.736:                              ;   in Loop: Header=BB6_733 Depth=2
	s_sleep 1
	s_trap 2
	ds_read_b64 v[4:5], v0
	s_andn2_b64 s[52:53], s[52:53], exec
	s_waitcnt lgkmcnt(0)
	v_cmp_ge_u64_e32 vcc, v[4:5], v[38:39]
	s_orn2_b64 vcc, vcc, exec
	s_branch .LBB6_732
.LBB6_737:                              ;   in Loop: Header=BB6_633 Depth=1
	s_or_b64 exec, exec, s[48:49]
	s_and_saveexec_b64 vcc, s[50:51]
	s_xor_b64 vcc, exec, vcc
	s_cbranch_execz .LBB6_739
; %bb.738:                              ;   in Loop: Header=BB6_633 Depth=1
	ds_write_b32 v0, v55
	s_trap 2
.LBB6_739:                              ;   in Loop: Header=BB6_633 Depth=1
	s_or_b64 exec, exec, s[46:47]
	;;#ASMSTART
	s_wakeup
	;;#ASMEND
.LBB6_740:                              ;   in Loop: Header=BB6_633 Depth=1
	s_or_b64 exec, exec, s[44:45]
.LBB6_741:                              ;   in Loop: Header=BB6_633 Depth=1
	s_andn2_saveexec_b64 vcc, s[42:43]
	s_cbranch_execz .LBB6_743
; %bb.742:                              ;   in Loop: Header=BB6_633 Depth=1
	s_waitcnt vmcnt(0) lgkmcnt(0)
	buffer_wbinvl1_vol
	s_barrier
.LBB6_743:                              ;   in Loop: Header=BB6_633 Depth=1
	s_or_b64 exec, exec, vcc
.LBB6_744:                              ;   in Loop: Header=BB6_633 Depth=1
	s_or_b64 exec, exec, s[40:41]
	v_and_b32_e32 v1, 16, v54
	v_cmp_ne_u32_e32 vcc, 0, v1
	s_and_b64 vcc, vcc, s[20:21]
	s_and_saveexec_b64 s[20:21], vcc
	s_cbranch_execz .LBB6_746
; %bb.745:                              ;   in Loop: Header=BB6_633 Depth=1
	s_waitcnt vmcnt(0) lgkmcnt(0)
	buffer_wbinvl1_vol
.LBB6_746:                              ;   in Loop: Header=BB6_633 Depth=1
	s_or_b64 exec, exec, s[20:21]
	v_cmp_ne_u32_e32 vcc, 0, v1
	s_and_saveexec_b64 s[20:21], vcc
	s_cbranch_execz .LBB6_750
; %bb.747:                              ;   in Loop: Header=BB6_633 Depth=1
	s_and_saveexec_b64 vcc, s[18:19]
	s_cbranch_execz .LBB6_749
; %bb.748:                              ;   in Loop: Header=BB6_633 Depth=1
	v_accvgpr_read_b32 v4, a16
	v_accvgpr_read_b32 v5, a17
	flat_store_dword v[4:5], v55
.LBB6_749:                              ;   in Loop: Header=BB6_633 Depth=1
	s_or_b64 exec, exec, vcc
	v_add_co_u32_e32 v8, vcc, 1, v8
	v_addc_co_u32_e32 v9, vcc, 0, v9, vcc
	flat_store_dwordx2 v[32:33], v[8:9]
.LBB6_750:                              ;   in Loop: Header=BB6_633 Depth=1
	s_or_b64 exec, exec, s[20:21]
	v_mov_b32_e32 v1, v52
.LBB6_751:                              ;   in Loop: Header=BB6_633 Depth=1
	s_or_b64 exec, exec, s[38:39]
	s_and_saveexec_b64 s[38:39], s[36:37]
	s_cbranch_execz .LBB6_632
; %bb.752:                              ;   in Loop: Header=BB6_633 Depth=1
	v_and_b32_e32 v3, 8, v54
	v_cmp_ne_u32_e32 vcc, 0, v3
	s_mov_b64 s[36:37], -1
	s_and_saveexec_b64 s[20:21], vcc
	s_cbranch_execz .LBB6_764
; %bb.753:                              ;   in Loop: Header=BB6_633 Depth=1
	v_add_co_u32_e32 v4, vcc, 8, v36
	v_addc_co_u32_e32 v5, vcc, 0, v37, vcc
	v_add_co_u32_e32 v22, vcc, 1, v8
	v_addc_co_u32_e32 v23, vcc, 0, v9, vcc
	v_cmp_lt_u64_e32 vcc, v[4:5], v[22:23]
	v_mov_b32_e32 v3, 1
	s_and_saveexec_b64 s[36:37], vcc
	s_cbranch_execz .LBB6_763
; %bb.754:                              ;   in Loop: Header=BB6_633 Depth=1
	s_mov_b64 s[40:41], 0
	v_mov_b32_e32 v3, 0
                                        ; implicit-def: $sgpr42_sgpr43
	s_branch .LBB6_758
.LBB6_755:                              ;   in Loop: Header=BB6_758 Depth=2
	s_or_b64 exec, exec, s[50:51]
	v_mov_b32_e32 v12, 0
	s_orn2_b64 s[48:49], s[48:49], exec
.LBB6_756:                              ;   in Loop: Header=BB6_758 Depth=2
	s_or_b64 exec, exec, s[46:47]
	s_andn2_b64 vcc, s[42:43], exec
	s_and_b64 s[42:43], s[48:49], exec
	s_or_b64 s[42:43], vcc, s[42:43]
	v_mov_b32_e32 v3, v12
.LBB6_757:                              ;   in Loop: Header=BB6_758 Depth=2
	s_or_b64 exec, exec, s[44:45]
	s_waitcnt vmcnt(0) lgkmcnt(0)
	v_add_co_u32_e32 v4, vcc, 8, v36
	v_addc_co_u32_e32 v5, vcc, 0, v37, vcc
	v_cmp_ge_u64_e32 vcc, v[4:5], v[22:23]
	s_xor_b64 s[44:45], s[42:43], -1
	s_or_b64 vcc, s[44:45], vcc
	s_and_b64 vcc, exec, vcc
	s_or_b64 s[40:41], vcc, s[40:41]
	s_andn2_b64 exec, exec, s[40:41]
	s_cbranch_execz .LBB6_762
.LBB6_758:                              ;   Parent Loop BB6_633 Depth=1
                                        ; =>  This Inner Loop Header: Depth=2
	s_sleep 1
	flat_load_dwordx2 v[36:37], v[32:33] glc
	v_and_b32_e32 v4, 64, v54
	v_cmp_eq_u32_e32 vcc, 0, v4
	s_andn2_b64 s[42:43], s[42:43], exec
	s_and_saveexec_b64 s[44:45], vcc
	s_cbranch_execz .LBB6_757
; %bb.759:                              ;   in Loop: Header=BB6_758 Depth=2
	v_add_u32_e32 v12, 1, v3
	v_cmp_lt_i32_e32 vcc, s59, v3
	s_mov_b64 s[48:49], -1
	s_and_saveexec_b64 s[46:47], vcc
	s_cbranch_execz .LBB6_756
; %bb.760:                              ;   in Loop: Header=BB6_758 Depth=2
	s_trap 2
	ds_read_b64 v[4:5], v0
	s_waitcnt vmcnt(0) lgkmcnt(0)
	flat_load_dword v3, v[4:5] glc
	s_waitcnt vmcnt(0) lgkmcnt(0)
	buffer_invl2
	buffer_wbinvl1_vol
	v_cmp_ne_u32_e32 vcc, 0, v3
	s_and_saveexec_b64 s[50:51], vcc
	s_cbranch_execz .LBB6_755
; %bb.761:                              ;   in Loop: Header=BB6_758 Depth=2
	v_or_b32_e32 v54, 64, v54
	s_xor_b64 s[48:49], exec, -1
	ds_write_b32 v0, v3
	s_trap 2
	s_branch .LBB6_755
.LBB6_762:                              ;   in Loop: Header=BB6_633 Depth=1
	s_or_b64 exec, exec, s[40:41]
	v_and_b32_e32 v3, 8, v54
.LBB6_763:                              ;   in Loop: Header=BB6_633 Depth=1
	s_or_b64 exec, exec, s[36:37]
	v_cmp_eq_u32_e32 vcc, 0, v3
	s_orn2_b64 s[36:37], vcc, exec
	;;#ASMSTART
	s_wakeup
	;;#ASMEND
.LBB6_764:                              ;   in Loop: Header=BB6_633 Depth=1
	s_or_b64 exec, exec, s[20:21]
	v_sub_u32_e32 v1, v20, v1
	s_xor_b64 s[20:21], s[36:37], -1
	v_min_i32_e32 v20, v52, v1
	s_and_saveexec_b64 s[36:37], s[20:21]
	s_cbranch_execz .LBB6_774
; %bb.765:                              ;   in Loop: Header=BB6_633 Depth=1
	v_and_b32_e32 v1, 0x100, v54
	v_cmp_ne_u32_e32 vcc, 0, v1
	v_and_b32_e32 v1, 7, v8
	s_mov_b64 s[20:21], -1
                                        ; implicit-def: $vgpr22_vgpr23
	s_and_saveexec_b64 s[40:41], vcc
	s_cbranch_execz .LBB6_769
; %bb.766:                              ;   in Loop: Header=BB6_633 Depth=1
	v_mad_u64_u32 v[24:25], s[20:21], v1, 24, v[6:7]
	flat_load_dword v3, v[24:25]
	v_ashrrev_i32_e32 v21, 31, v20
	v_lshlrev_b64 v[4:5], 1, v[20:21]
	flat_store_dwordx2 v[24:25], v[4:5] offset:8
                                        ; implicit-def: $vgpr22_vgpr23
	s_waitcnt vmcnt(0) lgkmcnt(0)
	v_cmp_ne_u32_e32 vcc, 1, v3
	v_cmp_eq_u32_e64 s[20:21], 1, v3
	s_and_saveexec_b64 s[42:43], s[20:21]
	s_cbranch_execz .LBB6_768
; %bb.767:                              ;   in Loop: Header=BB6_633 Depth=1
	flat_load_dword v4, v[24:25] offset:4 glc
	s_waitcnt vmcnt(0) lgkmcnt(0)
	v_ashrrev_i32_e32 v5, 31, v4
	v_lshrrev_b64 v[22:23], 1, v[4:5]
.LBB6_768:                              ;   in Loop: Header=BB6_633 Depth=1
	s_or_b64 exec, exec, s[42:43]
	s_orn2_b64 s[20:21], vcc, exec
.LBB6_769:                              ;   in Loop: Header=BB6_633 Depth=1
	s_or_b64 exec, exec, s[40:41]
	s_and_saveexec_b64 vcc, s[20:21]
; %bb.770:                              ;   in Loop: Header=BB6_633 Depth=1
	v_accvgpr_read_b32 v4, a14
	v_mad_i64_i32 v[22:23], s[20:21], v1, v4, 0
; %bb.771:                              ;   in Loop: Header=BB6_633 Depth=1
	s_or_b64 exec, exec, vcc
	v_lshlrev_b64 v[4:5], 1, v[22:23]
	v_add_co_u32_e32 v4, vcc, v34, v4
	v_addc_co_u32_e32 v5, vcc, v35, v5, vcc
	v_and_b32_e32 v1, 0x2000, v54
	v_cmp_ne_u32_e32 vcc, 0, v1
	ds_write_b64 v0, v[4:5] offset:784
	s_and_saveexec_b64 s[20:21], vcc
	s_cbranch_execz .LBB6_773
; %bb.772:                              ;   in Loop: Header=BB6_633 Depth=1
	ds_read_b64 v[4:5], v0 offset:584
	s_waitcnt lgkmcnt(0)
	v_add_co_u32_e32 v4, vcc, 1, v4
	v_addc_co_u32_e32 v5, vcc, 0, v5, vcc
	ds_write_b64 v0, v[4:5] offset:584
.LBB6_773:                              ;   in Loop: Header=BB6_633 Depth=1
	s_or_b64 exec, exec, s[20:21]
	v_add_co_u32_e32 v8, vcc, 1, v8
	v_addc_co_u32_e32 v9, vcc, 0, v9, vcc
.LBB6_774:                              ;   in Loop: Header=BB6_633 Depth=1
	s_or_b64 exec, exec, s[36:37]
	s_and_saveexec_b64 s[20:21], s[10:11]
	s_cbranch_execz .LBB6_793
; %bb.775:                              ;   in Loop: Header=BB6_633 Depth=1
	s_and_saveexec_b64 vcc, s[30:31]
	s_xor_b64 s[36:37], exec, vcc
	s_cbranch_execz .LBB6_790
; %bb.776:                              ;   in Loop: Header=BB6_633 Depth=1
	s_and_saveexec_b64 s[40:41], s[12:13]
	s_cbranch_execz .LBB6_789
; %bb.777:                              ;   in Loop: Header=BB6_633 Depth=1
	s_mov_b64 s[44:45], exec
	v_mbcnt_lo_u32_b32 v1, s44, 0
	v_mbcnt_hi_u32_b32 v1, s45, v1
	v_cmp_eq_u32_e32 vcc, 0, v1
	s_waitcnt vmcnt(0) lgkmcnt(0)
	buffer_wbinvl1_vol
	s_and_saveexec_b64 s[42:43], vcc
	s_cbranch_execz .LBB6_779
; %bb.778:                              ;   in Loop: Header=BB6_633 Depth=1
	s_bcnt1_i32_b64 vcc_lo, s[44:45]
	v_mov_b32_e32 v12, vcc_lo
	ds_add_u64 v0, v[12:13]
	s_trap 2
.LBB6_779:                              ;   in Loop: Header=BB6_633 Depth=1
	s_or_b64 exec, exec, s[42:43]
	s_trap 2
	ds_read_b64 v[4:5], v0
	v_add_co_u32_e32 v38, vcc, v38, v10
	v_addc_co_u32_e32 v39, vcc, 0, v39, vcc
	s_waitcnt lgkmcnt(0)
	v_cmp_lt_u64_e32 vcc, v[4:5], v[38:39]
	s_and_saveexec_b64 s[42:43], vcc
	s_cbranch_execz .LBB6_788
; %bb.780:                              ;   in Loop: Header=BB6_633 Depth=1
	s_mov_b32 s54, 0
	s_mov_b64 s[44:45], 0
                                        ; implicit-def: $sgpr46_sgpr47
                                        ; implicit-def: $sgpr48_sgpr49
	s_branch .LBB6_782
.LBB6_781:                              ;   in Loop: Header=BB6_782 Depth=2
	s_or_b64 exec, exec, s[52:53]
	s_and_b64 vcc, exec, vcc
	s_or_b64 s[44:45], vcc, s[44:45]
	s_andn2_b64 vcc, s[46:47], exec
	s_and_b64 s[46:47], s[48:49], exec
	s_or_b64 s[46:47], vcc, s[46:47]
	s_andn2_b64 exec, exec, s[44:45]
	s_cbranch_execz .LBB6_786
.LBB6_782:                              ;   Parent Loop BB6_633 Depth=1
                                        ; =>  This Inner Loop Header: Depth=2
	s_add_i32 s54, s54, 1
	s_cmpk_lg_i32 s54, 0x2710
	s_cselect_b64 s[50:51], -1, 0
	s_and_b64 vcc, exec, s[50:51]
                                        ; implicit-def: $sgpr52_sgpr53
	s_cbranch_vccnz .LBB6_784
; %bb.783:                              ;   in Loop: Header=BB6_782 Depth=2
	s_trap 2
	ds_read_b64 v[4:5], v0
	s_andn2_b64 s[50:51], s[50:51], exec
	s_mov_b32 s54, 0
	s_mov_b64 s[52:53], -1
	s_waitcnt lgkmcnt(0)
	flat_load_dword v1, v[4:5] glc
	s_waitcnt vmcnt(0) lgkmcnt(0)
	buffer_invl2
	buffer_wbinvl1_vol
	v_cmp_eq_u32_e32 vcc, 0, v1
	s_and_b64 vcc, vcc, exec
	s_or_b64 s[50:51], s[50:51], vcc
.LBB6_784:                              ;   in Loop: Header=BB6_782 Depth=2
	s_andn2_b64 s[48:49], s[48:49], exec
	s_and_b64 s[52:53], s[52:53], exec
	s_mov_b64 vcc, -1
	s_or_b64 s[48:49], s[48:49], s[52:53]
	s_and_saveexec_b64 s[52:53], s[50:51]
	s_cbranch_execz .LBB6_781
; %bb.785:                              ;   in Loop: Header=BB6_782 Depth=2
	s_sleep 1
	s_trap 2
	ds_read_b64 v[4:5], v0
	s_andn2_b64 s[48:49], s[48:49], exec
	s_waitcnt lgkmcnt(0)
	v_cmp_ge_u64_e32 vcc, v[4:5], v[38:39]
	s_orn2_b64 vcc, vcc, exec
	s_branch .LBB6_781
.LBB6_786:                              ;   in Loop: Header=BB6_633 Depth=1
	s_or_b64 exec, exec, s[44:45]
	s_and_saveexec_b64 vcc, s[46:47]
	s_xor_b64 vcc, exec, vcc
	s_cbranch_execz .LBB6_788
; %bb.787:                              ;   in Loop: Header=BB6_633 Depth=1
	ds_write_b32 v0, v55
	s_trap 2
.LBB6_788:                              ;   in Loop: Header=BB6_633 Depth=1
	s_or_b64 exec, exec, s[42:43]
	;;#ASMSTART
	s_wakeup
	;;#ASMEND
.LBB6_789:                              ;   in Loop: Header=BB6_633 Depth=1
	s_or_b64 exec, exec, s[40:41]
.LBB6_790:                              ;   in Loop: Header=BB6_633 Depth=1
	s_andn2_saveexec_b64 vcc, s[36:37]
	s_cbranch_execz .LBB6_792
; %bb.791:                              ;   in Loop: Header=BB6_633 Depth=1
	s_waitcnt vmcnt(0) lgkmcnt(0)
	buffer_wbinvl1_vol
	s_barrier
.LBB6_792:                              ;   in Loop: Header=BB6_633 Depth=1
	s_or_b64 exec, exec, vcc
.LBB6_793:                              ;   in Loop: Header=BB6_633 Depth=1
	s_or_b64 exec, exec, s[20:21]
	s_trap 2
	ds_read_b32 v3, v0
	v_cmp_lt_i32_e32 vcc, 0, v20
	v_and_b32_e32 v1, 16, v54
	s_waitcnt lgkmcnt(0)
	v_readfirstlane_b32 s20, v3
	s_cmp_eq_u32 s20, 0
	s_cselect_b64 s[20:21], -1, 0
	s_and_b64 s[20:21], vcc, s[20:21]
	v_cmp_ne_u32_e32 vcc, 0, v1
	s_and_b64 vcc, vcc, s[20:21]
	s_and_saveexec_b64 s[20:21], vcc
	s_cbranch_execz .LBB6_795
; %bb.794:                              ;   in Loop: Header=BB6_633 Depth=1
	s_waitcnt vmcnt(0)
	buffer_wbinvl1_vol
.LBB6_795:                              ;   in Loop: Header=BB6_633 Depth=1
	s_or_b64 exec, exec, s[20:21]
	v_cmp_ne_u32_e32 vcc, 0, v1
	s_and_saveexec_b64 s[20:21], vcc
	s_cbranch_execz .LBB6_631
; %bb.796:                              ;   in Loop: Header=BB6_633 Depth=1
	s_and_saveexec_b64 vcc, s[18:19]
	s_cbranch_execz .LBB6_630
; %bb.797:                              ;   in Loop: Header=BB6_633 Depth=1
	v_accvgpr_read_b32 v4, a16
	v_accvgpr_read_b32 v5, a17
	flat_store_dword v[4:5], v55
	s_branch .LBB6_630
.LBB6_798:
	s_or_b64 exec, exec, s[28:29]
.LBB6_799:
	s_or_b64 exec, exec, s[26:27]
.LBB6_800:
	s_or_b64 exec, exec, s[22:23]
	v_and_b32_e32 v0, 0x800, v54
	v_cmp_eq_u32_e32 vcc, 0, v0
	s_and_saveexec_b64 s[4:5], vcc
	s_cbranch_execz .LBB6_835
; %bb.801:
	v_and_b32_e32 v0, 48, v54
	v_cmp_ne_u32_e32 vcc, 0, v0
	s_and_saveexec_b64 s[6:7], vcc
	s_cbranch_execz .LBB6_803
; %bb.802:
	s_waitcnt vmcnt(0) lgkmcnt(0)
	flat_store_dwordx2 v[60:61], v[8:9] offset:104
.LBB6_803:
	s_or_b64 exec, exec, s[6:7]
	s_movk_i32 s6, 0x88
	v_and_b32_e32 v0, 0x88, v54
	v_cmp_eq_u32_e32 vcc, s6, v0
	s_and_saveexec_b64 s[6:7], vcc
	s_cbranch_execz .LBB6_815
; %bb.804:
	s_waitcnt vmcnt(0) lgkmcnt(0)
	v_add_u32_e32 v0, -1, v8
	v_and_b32_e32 v0, 7, v0
	v_mad_u64_u32 v[0:1], s[10:11], v0, 24, v[6:7]
	v_add_co_u32_e32 v2, vcc, 8, v0
	v_addc_co_u32_e32 v3, vcc, 0, v1, vcc
	s_mov_b64 s[10:11], 0
	v_mov_b32_e32 v0, 0
	s_movk_i32 s26, 0x270e
                                        ; implicit-def: $sgpr12_sgpr13
	s_branch .LBB6_809
.LBB6_805:                              ;   in Loop: Header=BB6_809 Depth=1
	s_or_b64 exec, exec, s[22:23]
	v_mov_b32_e32 v1, 0
	s_orn2_b64 s[20:21], s[20:21], exec
.LBB6_806:                              ;   in Loop: Header=BB6_809 Depth=1
	s_or_b64 exec, exec, s[18:19]
	s_and_b64 s[18:19], s[20:21], exec
	v_mov_b32_e32 v0, v1
.LBB6_807:                              ;   in Loop: Header=BB6_809 Depth=1
	s_or_b64 exec, exec, s[16:17]
	s_xor_b64 s[16:17], s[18:19], -1
	s_andn2_b64 s[12:13], s[12:13], exec
	s_and_b64 s[16:17], s[16:17], exec
	s_or_b64 s[12:13], s[12:13], s[16:17]
.LBB6_808:                              ;   in Loop: Header=BB6_809 Depth=1
	s_or_b64 exec, exec, s[14:15]
	s_and_b64 s[14:15], exec, s[12:13]
	s_or_b64 s[10:11], s[14:15], s[10:11]
	s_andn2_b64 exec, exec, s[10:11]
	s_cbranch_execz .LBB6_814
.LBB6_809:                              ; =>This Inner Loop Header: Depth=1
	flat_load_dwordx2 v[4:5], v[2:3] glc
	s_waitcnt vmcnt(0)
	s_or_b64 s[12:13], s[12:13], exec
	s_waitcnt lgkmcnt(0)
	v_cmp_ne_u64_e32 vcc, -1, v[4:5]
	s_and_saveexec_b64 s[14:15], vcc
	s_cbranch_execz .LBB6_808
; %bb.810:                              ;   in Loop: Header=BB6_809 Depth=1
	v_and_b32_e32 v1, 64, v54
	v_cmp_eq_u32_e32 vcc, 0, v1
	s_mov_b64 s[18:19], 0
	s_and_saveexec_b64 s[16:17], vcc
	s_cbranch_execz .LBB6_807
; %bb.811:                              ;   in Loop: Header=BB6_809 Depth=1
	v_add_u32_e32 v1, 1, v0
	v_cmp_lt_i32_e32 vcc, s26, v0
	s_mov_b64 s[20:21], -1
	s_and_saveexec_b64 s[18:19], vcc
	s_cbranch_execz .LBB6_806
; %bb.812:                              ;   in Loop: Header=BB6_809 Depth=1
	s_trap 2
	ds_read_b64 v[0:1], v0
	s_waitcnt lgkmcnt(0)
	flat_load_dword v0, v[0:1] glc
	s_waitcnt vmcnt(0) lgkmcnt(0)
	buffer_invl2
	buffer_wbinvl1_vol
	v_cmp_ne_u32_e32 vcc, 0, v0
	s_and_saveexec_b64 s[22:23], vcc
	s_cbranch_execz .LBB6_805
; %bb.813:                              ;   in Loop: Header=BB6_809 Depth=1
	v_or_b32_e32 v54, 64, v54
	s_xor_b64 s[20:21], exec, -1
	ds_write_b32 v0, v0
	s_trap 2
	s_branch .LBB6_805
.LBB6_814:
	s_or_b64 exec, exec, s[10:11]
.LBB6_815:
	s_or_b64 exec, exec, s[6:7]
	v_and_b32_e32 v0, 0x2000, v54
	v_cmp_ne_u32_e32 vcc, 0, v0
	s_and_saveexec_b64 s[6:7], vcc
	s_cbranch_execz .LBB6_817
; %bb.816:
	s_trap 2
	ds_read_b64 v[0:1], v0
	v_accvgpr_read_b32 v2, a6
	v_accvgpr_read_b32 v3, a7
	s_waitcnt lgkmcnt(0)
	flat_store_dwordx2 v[2:3], v[0:1] offset:16
.LBB6_817:
	s_or_b64 exec, exec, s[6:7]
	v_cmp_ne_u32_e32 vcc, 64, v56
	s_and_b64 exec, exec, vcc
	s_cbranch_execz .LBB6_835
; %bb.818:
	s_waitcnt vmcnt(0)
	v_cmp_ne_u32_sdwa s[6:7], v58, v56 src0_sel:WORD_0 src1_sel:DWORD
	s_and_saveexec_b64 s[10:11], s[6:7]
	s_xor_b64 s[6:7], exec, s[10:11]
	s_cbranch_execz .LBB6_833
; %bb.819:
	v_and_b32_e32 v0, 63, v31
	v_cmp_eq_u32_e32 vcc, 0, v0
	s_and_saveexec_b64 s[10:11], vcc
	s_cbranch_execz .LBB6_832
; %bb.820:
	s_mov_b64 s[14:15], exec
	v_mbcnt_lo_u32_b32 v0, s14, 0
	v_mbcnt_hi_u32_b32 v0, s15, v0
	v_cmp_eq_u32_e32 vcc, 0, v0
	s_waitcnt lgkmcnt(0)
	buffer_wbinvl1_vol
	s_and_saveexec_b64 s[12:13], vcc
	s_cbranch_execz .LBB6_822
; %bb.821:
	s_bcnt1_i32_b64 s14, s[14:15]
	v_mov_b32_e32 v0, s14
	v_mov_b32_e32 v1, 0
	ds_add_u64 v0, v[0:1]
	s_trap 2
.LBB6_822:
	s_or_b64 exec, exec, s[12:13]
	v_ashrrev_i32_e32 v0, 31, v56
	v_lshrrev_b32_e32 v0, 26, v0
	v_add_u32_e32 v0, v56, v0
	v_ashrrev_i32_e32 v0, 6, v0
	s_trap 2
	ds_read_b64 v[2:3], v0
	v_ashrrev_i32_e32 v1, 31, v0
	v_add_co_u32_e32 v0, vcc, v38, v0
	v_addc_co_u32_e32 v1, vcc, v39, v1, vcc
	s_waitcnt lgkmcnt(0)
	v_cmp_lt_u64_e32 vcc, v[2:3], v[0:1]
	s_and_saveexec_b64 s[12:13], vcc
	s_cbranch_execz .LBB6_831
; %bb.823:
	s_mov_b32 s28, 0
	s_mov_b64 s[14:15], 0
                                        ; implicit-def: $sgpr16_sgpr17
                                        ; implicit-def: $sgpr18_sgpr19
	s_branch .LBB6_825
.LBB6_824:                              ;   in Loop: Header=BB6_825 Depth=1
	s_or_b64 exec, exec, s[26:27]
	s_and_b64 s[20:21], exec, s[22:23]
	s_or_b64 s[14:15], s[20:21], s[14:15]
	s_andn2_b64 s[16:17], s[16:17], exec
	s_and_b64 s[20:21], s[18:19], exec
	s_or_b64 s[16:17], s[16:17], s[20:21]
	s_andn2_b64 exec, exec, s[14:15]
	s_cbranch_execz .LBB6_829
.LBB6_825:                              ; =>This Inner Loop Header: Depth=1
	s_add_i32 s28, s28, 1
	s_cmpk_lg_i32 s28, 0x2710
	s_cselect_b64 s[20:21], -1, 0
	s_and_b64 vcc, exec, s[20:21]
                                        ; implicit-def: $sgpr26_sgpr27
	s_cbranch_vccnz .LBB6_827
; %bb.826:                              ;   in Loop: Header=BB6_825 Depth=1
	s_trap 2
	ds_read_b64 v[2:3], v0
	s_andn2_b64 s[20:21], s[20:21], exec
	s_mov_b32 s28, 0
	s_mov_b64 s[26:27], -1
	s_waitcnt lgkmcnt(0)
	flat_load_dword v2, v[2:3] glc
	s_waitcnt vmcnt(0) lgkmcnt(0)
	buffer_invl2
	buffer_wbinvl1_vol
	v_cmp_eq_u32_e32 vcc, 0, v2
	s_and_b64 s[22:23], vcc, exec
	s_or_b64 s[20:21], s[20:21], s[22:23]
.LBB6_827:                              ;   in Loop: Header=BB6_825 Depth=1
	s_andn2_b64 s[18:19], s[18:19], exec
	s_and_b64 s[26:27], s[26:27], exec
	s_mov_b64 s[22:23], -1
	s_or_b64 s[18:19], s[18:19], s[26:27]
	s_and_saveexec_b64 s[26:27], s[20:21]
	s_cbranch_execz .LBB6_824
; %bb.828:                              ;   in Loop: Header=BB6_825 Depth=1
	s_sleep 1
	s_trap 2
	ds_read_b64 v[2:3], v0
	s_andn2_b64 s[18:19], s[18:19], exec
	s_waitcnt lgkmcnt(0)
	v_cmp_ge_u64_e32 vcc, v[2:3], v[0:1]
	s_orn2_b64 s[22:23], vcc, exec
	s_branch .LBB6_824
.LBB6_829:
	s_or_b64 exec, exec, s[14:15]
	s_and_saveexec_b64 s[14:15], s[16:17]
	s_xor_b64 s[14:15], exec, s[14:15]
	s_cbranch_execz .LBB6_831
; %bb.830:
	v_mov_b32_e32 v0, 1
	ds_write_b32 v0, v0
	s_trap 2
.LBB6_831:
	s_or_b64 exec, exec, s[12:13]
	;;#ASMSTART
	s_wakeup
	;;#ASMEND
.LBB6_832:
	s_or_b64 exec, exec, s[10:11]
.LBB6_833:
	s_andn2_saveexec_b64 s[6:7], s[6:7]
	s_cbranch_execz .LBB6_835
; %bb.834:
	s_waitcnt lgkmcnt(0)
	buffer_wbinvl1_vol
	s_barrier
.LBB6_835:
	s_or_b64 exec, exec, s[4:5]
.LBB6_836:
	s_andn2_saveexec_b64 s[26:27], s[24:25]
	s_cbranch_execz .LBB6_838
; %bb.837:
	s_getpc_b64 s[4:5]
	s_add_u32 s4, s4, __PRETTY_FUNCTION__._ZN10PrimitivesI12hip_bfloat167FuncSumIS0_E12FanSymmetricILi1EELi0E11ProtoSimpleILi1ELi1ELi0ELi2ELi0ELi0EELi0ELb0ELi0ELi0ELi0EEC2EiiPKiS9_PKvPvmhhhP15ncclDevWorkCollP14ncclDevWorkP2pii@rel32@lo+4
	s_addc_u32 s5, s5, __PRETTY_FUNCTION__._ZN10PrimitivesI12hip_bfloat167FuncSumIS0_E12FanSymmetricILi1EELi0E11ProtoSimpleILi1ELi1ELi0ELi2ELi0ELi0EELi0ELb0ELi0ELi0ELi0EEC2EiiPKiS9_PKvPvmhhhP15ncclDevWorkCollP14ncclDevWorkP2pii@rel32@hi+12
	v_mov_b32_e32 v0, s4
	v_mov_b32_e32 v1, s5
	s_getpc_b64 s[6:7]
	s_add_u32 s6, s6, __assert_fail@rel32@lo+4
	s_addc_u32 s7, s7, __assert_fail@rel32@hi+12
	s_swappc_b64 s[30:31], s[6:7]
	; divergent unreachable
.LBB6_838:
	s_or_b64 exec, exec, s[26:27]
	buffer_load_dword v62, off, s[0:3], s33 ; 4-byte Folded Reload
	buffer_load_dword v61, off, s[0:3], s33 offset:4 ; 4-byte Folded Reload
	buffer_load_dword v60, off, s[0:3], s33 offset:8 ; 4-byte Folded Reload
	;; [unrolled: 1-line block ×7, first 2 shown]
	v_readlane_b32 s30, v63, 36
	v_readlane_b32 s31, v63, 37
	;; [unrolled: 1-line block ×38, first 2 shown]
	v_accvgpr_read_b32 v46, a31             ;  Reload Reuse
	v_accvgpr_read_b32 v45, a30             ;  Reload Reuse
	;; [unrolled: 1-line block ×7, first 2 shown]
	v_readlane_b32 s4, v63, 38
	s_or_saveexec_b64 s[6:7], -1
	buffer_load_dword v63, off, s[0:3], s33 offset:32 ; 4-byte Folded Reload
	s_mov_b64 exec, s[6:7]
	s_addk_i32 s32, 0xf400
	s_mov_b32 s33, s4
	s_waitcnt vmcnt(0) lgkmcnt(0)
	s_setpc_b64 s[30:31]
.Lfunc_end6:
	.size	_ZN12_GLOBAL__N_17runRingI12hip_bfloat167FuncSumIS1_E11ProtoSimpleILi1ELi1ELi0ELi2ELi0ELi0EELi0ELi2ELi0EEEviiP15ncclDevWorkColl, .Lfunc_end6-_ZN12_GLOBAL__N_17runRingI12hip_bfloat167FuncSumIS1_E11ProtoSimpleILi1ELi1ELi0ELi2ELi0ELi0EELi0ELi2ELi0EEEviiP15ncclDevWorkColl
                                        ; -- End function
	.section	.AMDGPU.csdata,"",@progbits
; Function info:
; codeLenInByte = 25304
; NumSgprs: 74
; NumVgprs: 64
; NumAgprs: 32
; TotalNumVgprs: 96
; ScratchSize: 112
; MemoryBound: 1
	.text
	.p2align	2                               ; -- Begin function _Z45ncclDevFunc_Reduce_RING_SIMPLE_Sum_bf16_0_0_2v
	.type	_Z45ncclDevFunc_Reduce_RING_SIMPLE_Sum_bf16_0_0_2v,@function
_Z45ncclDevFunc_Reduce_RING_SIMPLE_Sum_bf16_0_0_2v: ; @_Z45ncclDevFunc_Reduce_RING_SIMPLE_Sum_bf16_0_0_2v
; %bb.0:
	s_waitcnt vmcnt(0) expcnt(0) lgkmcnt(0)
	s_mov_b32 s4, s33
	s_mov_b32 s33, s32
	s_or_saveexec_b64 s[6:7], -1
	buffer_store_dword v43, off, s[0:3], s33 offset:16 ; 4-byte Folded Spill
	s_mov_b64 exec, s[6:7]
	v_writelane_b32 v43, s4, 46
	s_addk_i32 s32, 0x800
	buffer_store_dword v40, off, s[0:3], s33 offset:12 ; 4-byte Folded Spill
	buffer_store_dword v41, off, s[0:3], s33 offset:8 ; 4-byte Folded Spill
	;; [unrolled: 1-line block ×3, first 2 shown]
	buffer_store_dword v63, off, s[0:3], s33 ; 4-byte Folded Spill
	v_writelane_b32 v43, s34, 0
	v_writelane_b32 v43, s35, 1
	;; [unrolled: 1-line block ×46, first 2 shown]
	s_trap 2
	ds_read_b32 v0, v0
	v_mov_b32_e32 v40, v31
	s_mov_b32 s72, s12
	s_mov_b64 s[70:71], s[8:9]
	s_waitcnt lgkmcnt(0)
	v_cmp_gt_i32_e32 vcc, 1, v0
	s_cbranch_vccnz .LBB7_8
; %bb.1:
	s_mov_b32 s73, 0
	v_and_b32_e32 v41, 0x3ff, v40
	s_mov_b64 s[74:75], src_shared_base
	v_mov_b32_e32 v42, 6
	s_branch .LBB7_3
.LBB7_2:                                ;   in Loop: Header=BB7_3 Depth=1
	s_or_b64 exec, exec, s[76:77]
	s_trap 2
	ds_read_b32 v0, v0
	s_add_i32 s73, s73, 1
	s_waitcnt lgkmcnt(0)
	v_cmp_lt_i32_e32 vcc, s73, v0
	s_cbranch_vccz .LBB7_8
.LBB7_3:                                ; =>This Inner Loop Header: Depth=1
	s_trap 2
	ds_read_b32 v0, v0
	s_cmp_eq_u32 s73, 0
	s_cbranch_scc1 .LBB7_6
; %bb.4:                                ;   in Loop: Header=BB7_3 Depth=1
	s_trap 2
	s_waitcnt lgkmcnt(0)
	ds_read_b32 v1, v0
	s_waitcnt lgkmcnt(0)
	v_xor_b32_e32 v1, v1, v0
	v_and_b32_e32 v1, 0xff0000, v1
	v_cmp_eq_u32_e32 vcc, 0, v1
	s_cbranch_vccnz .LBB7_6
; %bb.5:                                ;   in Loop: Header=BB7_3 Depth=1
	s_barrier
	ds_read_b32 v0, v0
.LBB7_6:                                ;   in Loop: Header=BB7_3 Depth=1
	s_waitcnt lgkmcnt(0)
	v_lshlrev_b32_sdwa v1, v42, v0 dst_sel:DWORD dst_unused:UNUSED_PAD src0_sel:DWORD src1_sel:BYTE_2
	v_cmp_lt_u32_e32 vcc, v41, v1
	s_and_saveexec_b64 s[76:77], vcc
	s_cbranch_execz .LBB7_2
; %bb.7:                                ;   in Loop: Header=BB7_3 Depth=1
	s_mov_b64 s[8:9], s[70:71]
	s_mov_b32 s12, s72
	v_mov_b32_e32 v31, v40
	v_mov_b32_e32 v0, v41
	;; [unrolled: 1-line block ×3, first 2 shown]
	s_getpc_b64 s[4:5]
	s_add_u32 s4, s4, _ZN12_GLOBAL__N_17runRingI12hip_bfloat167FuncSumIS1_E11ProtoSimpleILi1ELi1ELi0ELi2ELi0ELi0EELi0ELi2ELi0EEEviiP15ncclDevWorkColl@rel32@lo+4
	s_addc_u32 s5, s5, _ZN12_GLOBAL__N_17runRingI12hip_bfloat167FuncSumIS1_E11ProtoSimpleILi1ELi1ELi0ELi2ELi0ELi0EELi0ELi2ELi0EEEviiP15ncclDevWorkColl@rel32@hi+12
	s_swappc_b64 s[30:31], s[4:5]
	s_branch .LBB7_2
.LBB7_8:
	buffer_load_dword v63, off, s[0:3], s33 ; 4-byte Folded Reload
	buffer_load_dword v42, off, s[0:3], s33 offset:4 ; 4-byte Folded Reload
	buffer_load_dword v41, off, s[0:3], s33 offset:8 ; 4-byte Folded Reload
	;; [unrolled: 1-line block ×3, first 2 shown]
	v_readlane_b32 s30, v43, 44
	v_readlane_b32 s31, v43, 45
	;; [unrolled: 1-line block ×47, first 2 shown]
	s_or_saveexec_b64 s[6:7], -1
	buffer_load_dword v43, off, s[0:3], s33 offset:16 ; 4-byte Folded Reload
	s_mov_b64 exec, s[6:7]
	s_addk_i32 s32, 0xf800
	s_mov_b32 s33, s4
	s_waitcnt vmcnt(0)
	s_setpc_b64 s[30:31]
.Lfunc_end7:
	.size	_Z45ncclDevFunc_Reduce_RING_SIMPLE_Sum_bf16_0_0_2v, .Lfunc_end7-_Z45ncclDevFunc_Reduce_RING_SIMPLE_Sum_bf16_0_0_2v
                                        ; -- End function
	.section	.AMDGPU.csdata,"",@progbits
; Function info:
; codeLenInByte = 1116
; NumSgprs: 82
; NumVgprs: 64
; NumAgprs: 32
; TotalNumVgprs: 96
; ScratchSize: 144
; MemoryBound: 0
	.text
	.p2align	2                               ; -- Begin function _ZN12_GLOBAL__N_17runRingI12hip_bfloat167FuncSumIS1_E11ProtoSimpleILi1ELi1ELi0ELi2ELi0ELi0EELi0ELi2ELi1EEEviiP15ncclDevWorkColl
	.type	_ZN12_GLOBAL__N_17runRingI12hip_bfloat167FuncSumIS1_E11ProtoSimpleILi1ELi1ELi0ELi2ELi0ELi0EELi0ELi2ELi1EEEviiP15ncclDevWorkColl,@function
_ZN12_GLOBAL__N_17runRingI12hip_bfloat167FuncSumIS1_E11ProtoSimpleILi1ELi1ELi0ELi2ELi0ELi0EELi0ELi2ELi1EEEviiP15ncclDevWorkColl: ; @_ZN12_GLOBAL__N_17runRingI12hip_bfloat167FuncSumIS1_E11ProtoSimpleILi1ELi1ELi0ELi2ELi0ELi0EELi0ELi2ELi1EEEviiP15ncclDevWorkColl
; %bb.0:
	s_waitcnt vmcnt(0) expcnt(0) lgkmcnt(0)
	s_mov_b32 s4, s33
	s_mov_b32 s33, s32
	s_or_saveexec_b64 s[6:7], -1
	buffer_store_dword v63, off, s[0:3], s33 offset:224 ; 4-byte Folded Spill
	s_mov_b64 exec, s[6:7]
	v_writelane_b32 v63, s4, 41
	s_addk_i32 s32, 0x3c00
	buffer_store_dword v40, off, s[0:3], s33 offset:148 ; 4-byte Folded Spill
	buffer_store_dword v41, off, s[0:3], s33 offset:144 ; 4-byte Folded Spill
	;; [unrolled: 1-line block ×37, first 2 shown]
	buffer_store_dword a54, off, s[0:3], s33 ; 4-byte Folded Spill
	v_writelane_b32 v63, s34, 0
	v_writelane_b32 v63, s35, 1
	;; [unrolled: 1-line block ×41, first 2 shown]
	s_trap 2
	ds_read_b64 v[14:15], v0
	ds_read_b32 v5, v0
	flat_load_ushort v17, v[2:3] offset:8
	flat_load_dwordx2 v[8:9], v[2:3]
                                        ; implicit-def: $vgpr18_vgpr19
                                        ; implicit-def: $vgpr22_vgpr23
                                        ; implicit-def: $agpr6_agpr7
	s_waitcnt lgkmcnt(0)
	v_ashrrev_i32_e32 v7, 31, v15
	v_mov_b32_e32 v6, v15
	v_lshlrev_b64 v[6:7], 2, v[6:7]
	v_add_co_u32_e32 v6, vcc, v14, v6
	v_addc_co_u32_e32 v4, vcc, v15, v7, vcc
	v_add_co_u32_e32 v6, vcc, -4, v6
	v_addc_co_u32_e32 v7, vcc, -1, v4, vcc
	flat_load_dword v15, v[6:7]
	s_waitcnt vmcnt(0)
	v_mov_b32_e32 v16, v9
	v_cmp_ne_u32_sdwa s[4:5], v8, v5 src0_sel:BYTE_0 src1_sel:DWORD
	s_and_saveexec_b64 s[6:7], s[4:5]
	s_xor_b64 s[4:5], exec, s[6:7]
	s_cbranch_execz .LBB8_6
; %bb.1:
	v_not_b32_sdwa v4, v8 dst_sel:DWORD dst_unused:UNUSED_PAD src0_sel:BYTE_0
	v_cmp_ne_u32_sdwa s[6:7], v8, v5 src0_sel:BYTE_1 src1_sel:DWORD
                                        ; implicit-def: $vgpr18_vgpr19
                                        ; implicit-def: $vgpr22_vgpr23
                                        ; implicit-def: $agpr6_agpr7
	s_and_saveexec_b64 s[10:11], s[6:7]
	s_xor_b64 s[6:7], exec, s[10:11]
	s_cbranch_execz .LBB8_3
; %bb.2:
	flat_load_dwordx4 v[6:9], v[2:3] offset:72
	flat_load_dwordx2 v[10:11], v[2:3] offset:96
	v_add_u32_e32 v4, v5, v4
	v_ashrrev_i32_e32 v5, 31, v4
	s_waitcnt vmcnt(0) lgkmcnt(0)
	v_mul_lo_u32 v5, v8, v5
	v_mad_u64_u32 v[6:7], s[10:11], v8, v4, v[6:7]
	v_mul_lo_u32 v4, v9, v4
	v_add3_u32 v7, v4, v7, v5
	v_accvgpr_write_b32 a6, v6
	v_lshrrev_b64 v[18:19], 13, v[10:11]
	v_accvgpr_write_b32 a7, v7
	v_pk_mov_b32 v[22:23], v[8:9], v[8:9] op_sel:[0,1]
                                        ; implicit-def: $vgpr8
                                        ; implicit-def: $vgpr4
.LBB8_3:
	s_andn2_saveexec_b64 s[6:7], s[6:7]
	s_cbranch_execz .LBB8_5
; %bb.4:
	flat_load_dwordx4 v[10:13], v[2:3] offset:72
	flat_load_dwordx4 v[22:25], v[2:3] offset:88
	v_add_u32_sdwa v4, v8, v4 dst_sel:DWORD dst_unused:UNUSED_PAD src0_sel:BYTE_1 src1_sel:DWORD
	v_ashrrev_i32_e32 v5, 31, v4
	s_waitcnt vmcnt(0) lgkmcnt(0)
	v_mul_lo_u32 v5, v12, v5
	v_mad_u64_u32 v[6:7], s[10:11], v12, v4, v[10:11]
	v_mul_lo_u32 v4, v13, v4
	v_add3_u32 v7, v4, v7, v5
	v_accvgpr_write_b32 a6, v6
	v_accvgpr_write_b32 a7, v7
	v_lshrrev_b32_e32 v18, 2, v25
.LBB8_5:
	s_or_b64 exec, exec, s[6:7]
.LBB8_6:
	s_andn2_saveexec_b64 s[4:5], s[4:5]
	s_cbranch_execz .LBB8_8
; %bb.7:
	flat_load_dwordx2 v[4:5], v[2:3] offset:96
	flat_load_dwordx2 v[22:23], v[2:3] offset:72
	s_waitcnt vmcnt(0) lgkmcnt(0)
	v_lshlrev_b64 v[18:19], 8, v[4:5]
	v_pk_mov_b32 v[4:5], 0, 0
	v_accvgpr_write_b32 a7, v5
	v_accvgpr_write_b32 a6, v4
.LBB8_8:
	s_or_b64 exec, exec, s[4:5]
	s_trap 2
	ds_read_b64 v[6:7], v0
	s_waitcnt lgkmcnt(0)
	v_cmp_ne_u32_e32 vcc, -1, v6
	v_cndmask_b32_e64 v5, 0, 1, vcc
	v_cmp_ne_u32_e32 vcc, -1, v7
	v_addc_co_u32_e64 v4, s[4:5], 0, v5, vcc
	v_lshlrev_b32_e32 v6, 1, v4
	v_cmp_le_i32_e64 s[4:5], v6, v1
	s_and_saveexec_b64 s[6:7], s[4:5]
	s_xor_b64 s[28:29], exec, s[6:7]
	s_cbranch_execz .LBB8_1395
; %bb.9:
	flat_load_dwordx4 v[10:13], v[2:3] offset:16
	flat_load_dwordx2 v[20:21], v[2:3] offset:104
	s_trap 2
	s_load_dword s4, s[8:9], 0x0
	v_mov_b32_e32 v2, 0
	v_mov_b32_e32 v62, 4
	s_waitcnt lgkmcnt(0)
	s_cmp_lt_u32 s12, s4
	s_cselect_b32 s4, 12, 18
	s_add_u32 s4, s8, s4
	s_addc_u32 s5, s9, 0
	global_load_ushort v19, v2, s[4:5]
	ds_read_b32 v2, v0
	v_cmp_ge_i32_e64 s[4:5], v0, v5
	s_waitcnt lgkmcnt(0)
	v_readfirstlane_b32 s12, v2
	s_and_saveexec_b64 s[6:7], s[4:5]
	s_cbranch_execz .LBB8_19
; %bb.10:
	v_cmp_le_u32_e64 s[4:5], v4, v0
                                        ; implicit-def: $vgpr62
	s_and_saveexec_b64 s[10:11], s[4:5]
	s_xor_b64 s[4:5], exec, s[10:11]
	s_cbranch_execz .LBB8_16
; %bb.11:
	v_cndmask_b32_e64 v2, 0, 1, vcc
	v_sub_u32_e32 v2, v1, v2
	v_cmp_ge_u32_e32 vcc, v0, v2
                                        ; implicit-def: $sgpr13
	s_and_saveexec_b64 s[10:11], vcc
	s_xor_b64 s[10:11], exec, s[10:11]
; %bb.12:
	s_mov_b32 s13, 16
                                        ; implicit-def: $vgpr4
; %bb.13:
	s_or_saveexec_b64 s[10:11], s[10:11]
	v_mov_b32_e32 v62, s13
	s_xor_b64 exec, exec, s[10:11]
; %bb.14:
	v_sub_u32_e32 v2, v1, v4
	v_cmp_ge_i32_e32 vcc, v0, v2
	v_cndmask_b32_e64 v2, 0, 1, vcc
	v_lshlrev_b32_e32 v62, 5, v2
; %bb.15:
	s_or_b64 exec, exec, s[10:11]
.LBB8_16:
	s_andn2_saveexec_b64 s[4:5], s[4:5]
; %bb.17:
	v_mov_b32_e32 v62, 8
; %bb.18:
	s_or_b64 exec, exec, s[4:5]
.LBB8_19:
	s_or_b64 exec, exec, s[6:7]
	v_and_b32_e32 v2, 36, v62
	v_cmp_ne_u32_e32 vcc, 0, v2
	v_mov_b32_e32 v2, -1
	s_and_saveexec_b64 s[4:5], vcc
	s_cbranch_execz .LBB8_21
; %bb.20:
	s_trap 2
	ds_read_b32 v2, v0
.LBB8_21:
	s_or_b64 exec, exec, s[4:5]
	v_and_b32_e32 v3, 24, v62
	v_cmp_ne_u32_e64 s[4:5], 0, v3
	s_and_saveexec_b64 s[6:7], s[4:5]
	s_cbranch_execz .LBB8_23
; %bb.22:
	s_trap 2
	s_waitcnt lgkmcnt(0)
	ds_read_b32 v2, v0
.LBB8_23:
	s_or_b64 exec, exec, s[6:7]
	v_lshrrev_b64 v[6:7], 31, v[16:17]
	v_pk_mov_b32 v[24:25], 0, 0
	v_and_b32_e32 v4, 3, v6
	s_waitcnt lgkmcnt(0)
	v_ashrrev_i32_e32 v3, 31, v2
	v_pk_mov_b32 v[26:27], v[24:25], v[24:25] op_sel:[0,1]
                                        ; implicit-def: $agpr8_agpr9
                                        ; implicit-def: $agpr16
                                        ; implicit-def: $vgpr46_vgpr47
                                        ; implicit-def: $agpr18_agpr19
                                        ; implicit-def: $vgpr42_vgpr43
	s_and_saveexec_b64 s[4:5], vcc
	s_cbranch_execz .LBB8_33
; %bb.24:
	s_trap 2
	ds_read_b64 v[6:7], v0
	v_lshlrev_b64 v[8:9], 3, v[2:3]
	s_movk_i32 s6, 0xa8
                                        ; implicit-def: $agpr8_agpr9
	s_waitcnt lgkmcnt(0)
	v_add_co_u32_e32 v6, vcc, v6, v8
	v_addc_co_u32_e32 v7, vcc, v7, v9, vcc
	flat_load_dwordx2 v[6:7], v[6:7]
	v_and_b32_e32 v8, 0xffff, v4
	s_waitcnt vmcnt(0) lgkmcnt(0)
	v_mad_u64_u32 v[6:7], s[6:7], v8, s6, v[6:7]
	flat_load_dword v8, v[6:7] offset:640
	v_add_co_u32_e32 v24, vcc, 0x1f8, v6
	v_addc_co_u32_e32 v25, vcc, 0, v7, vcc
	s_waitcnt vmcnt(0) lgkmcnt(0)
	v_cmp_eq_u32_e32 vcc, 1, v8
	s_and_saveexec_b64 s[6:7], vcc
	s_cbranch_execz .LBB8_26
; %bb.25:
	flat_load_dwordx2 v[8:9], v[24:25] offset:144
	v_or_b32_e32 v62, 0x2000, v62
	s_waitcnt vmcnt(0) lgkmcnt(0)
	flat_load_dwordx2 v[6:7], v[8:9]
	s_trap 2
	v_accvgpr_write_b32 a8, v8
	v_accvgpr_write_b32 a9, v9
	s_waitcnt vmcnt(0) lgkmcnt(0)
	ds_write_b64 v0, v[6:7]
	flat_load_dwordx2 v[6:7], v[8:9] offset:8
	s_waitcnt vmcnt(0) lgkmcnt(0)
	ds_write_b64 v0, v[6:7]
	flat_load_dwordx2 v[6:7], v[8:9] offset:16
	s_waitcnt vmcnt(0) lgkmcnt(0)
	ds_write_b64 v0, v[6:7]
.LBB8_26:
	s_or_b64 exec, exec, s[6:7]
	flat_load_dwordx2 v[28:29], v[24:25] offset:104
	v_and_b32_e32 v6, 32, v62
	v_cmp_ne_u32_e32 vcc, 0, v6
                                        ; implicit-def: $vgpr42_vgpr43
	s_and_saveexec_b64 s[6:7], vcc
	s_cbranch_execz .LBB8_28
; %bb.27:
	flat_load_dwordx2 v[42:43], v[24:25] offset:56
	s_waitcnt vmcnt(0) lgkmcnt(0)
	flat_store_dwordx2 v[42:43], v[28:29]
.LBB8_28:
	s_or_b64 exec, exec, s[6:7]
	v_and_b32_e32 v6, 4, v62
	v_cmp_ne_u32_e32 vcc, 0, v6
	v_pk_mov_b32 v[26:27], 0, 0
                                        ; implicit-def: $agpr16
                                        ; implicit-def: $vgpr46_vgpr47
                                        ; implicit-def: $agpr18_agpr19
	s_and_saveexec_b64 s[6:7], vcc
	s_cbranch_execz .LBB8_32
; %bb.29:
	v_and_b32_e32 v6, 0x800, v62
	v_cmp_eq_u32_e32 vcc, 0, v6
	s_and_saveexec_b64 s[10:11], vcc
	s_cbranch_execz .LBB8_31
; %bb.30:
	s_trap 2
	ds_write_b64 v0, v[24:25]
.LBB8_31:
	s_or_b64 exec, exec, s[10:11]
	flat_load_dwordx2 v[42:43], v[24:25] offset:48
	v_or_b32_e32 v7, 0x100, v62
	s_waitcnt vmcnt(0) lgkmcnt(0)
	flat_load_dwordx2 v[46:47], v[42:43] glc
	flat_load_dword v6, v[24:25] offset:72
	flat_load_dwordx2 v[26:27], v[24:25] offset:96
	flat_load_dwordx2 a[18:19], v[24:25] offset:16
	s_waitcnt vmcnt(0) lgkmcnt(0)
	v_ashrrev_i32_e32 v6, 1, v6
	v_cmp_eq_u64_e32 vcc, 0, v[26:27]
	v_accvgpr_write_b32 a16, v6
	v_cndmask_b32_e32 v62, v7, v62, vcc
.LBB8_32:
	s_or_b64 exec, exec, s[6:7]
.LBB8_33:
	s_or_b64 exec, exec, s[4:5]
	v_and_b32_e32 v6, 24, v62
	v_cmp_ne_u32_e32 vcc, 0, v6
                                        ; implicit-def: $agpr24_agpr25
	s_and_saveexec_b64 s[4:5], vcc
	s_cbranch_execz .LBB8_41
; %bb.34:
	s_trap 2
	ds_read_b64 v[6:7], v0
	v_lshlrev_b64 v[2:3], 3, v[2:3]
	v_and_b32_e32 v4, 0xffff, v4
	s_movk_i32 s6, 0xa8
                                        ; implicit-def: $agpr24_agpr25
	s_waitcnt lgkmcnt(0)
	v_add_co_u32_e32 v2, vcc, v6, v2
	v_addc_co_u32_e32 v3, vcc, v7, v3, vcc
	flat_load_dwordx2 v[2:3], v[2:3]
	s_waitcnt vmcnt(0) lgkmcnt(0)
	v_mad_u64_u32 v[24:25], s[6:7], v4, s6, v[2:3]
	flat_load_dwordx4 v[26:29], v[24:25] offset:96
	v_or_b32_e32 v2, 0x100, v62
	s_waitcnt vmcnt(0) lgkmcnt(0)
	v_cmp_eq_u64_e32 vcc, 0, v[26:27]
	v_cndmask_b32_e32 v62, v2, v62, vcc
	v_and_b32_e32 v2, 16, v62
	v_cmp_ne_u32_e32 vcc, 0, v2
	s_and_saveexec_b64 s[6:7], vcc
	s_cbranch_execz .LBB8_36
; %bb.35:
	flat_load_dwordx2 a[24:25], v[24:25] offset:120
	flat_load_dwordx2 v[42:43], v[24:25] offset:48
	;; [unrolled: 1-line block ×3, first 2 shown]
.LBB8_36:
	s_or_b64 exec, exec, s[6:7]
	v_and_b32_e32 v2, 8, v62
	v_cmp_ne_u32_e32 vcc, 0, v2
	s_and_saveexec_b64 s[6:7], vcc
	s_cbranch_execz .LBB8_40
; %bb.37:
	v_and_b32_e32 v2, 0x800, v62
	v_cmp_eq_u32_e32 vcc, 0, v2
	s_and_saveexec_b64 s[10:11], vcc
	s_cbranch_execz .LBB8_39
; %bb.38:
	s_trap 2
	ds_write_b64 v0, v[24:25]
.LBB8_39:
	s_or_b64 exec, exec, s[10:11]
	s_waitcnt vmcnt(0) lgkmcnt(0)
	flat_load_dwordx2 v[42:43], v[24:25] offset:56
	s_waitcnt vmcnt(0) lgkmcnt(0)
	flat_load_dwordx2 v[46:47], v[42:43] glc
	flat_load_dword v2, v[24:25] offset:72
	flat_load_dwordx2 a[18:19], v[24:25] offset:16
	s_waitcnt vmcnt(0) lgkmcnt(0)
	v_ashrrev_i32_e32 v2, 1, v2
	v_accvgpr_write_b32 a16, v2
.LBB8_40:
	s_or_b64 exec, exec, s[6:7]
.LBB8_41:
	s_or_b64 exec, exec, s[4:5]
	v_cmp_eq_u32_e64 s[4:5], 0, v0
	s_and_saveexec_b64 s[6:7], s[4:5]
	s_cbranch_execz .LBB8_43
; %bb.42:
	s_waitcnt vmcnt(0)
	v_mov_b32_e32 v2, v12
	v_mov_b32_e32 v3, v13
	;; [unrolled: 1-line block ×4, first 2 shown]
	ds_write2_b64 v0, v[2:3], v[6:7] offset1:1
	v_mov_b32_e32 v2, 0
	v_mov_b32_e32 v3, v2
	s_trap 2
	ds_write_b64 v0, v[2:3]
	ds_write_b64 v0, v[20:21]
.LBB8_43:
	s_or_b64 exec, exec, s[6:7]
	s_ashr_i32 s6, s12, 31
	s_lshr_b32 s6, s6, 29
	s_add_i32 s12, s12, s6
	v_bfe_u32 v2, v16, 1, 30
	v_and_b32_e32 v34, 0x1fffff00, v18
	v_mov_b32_e32 v35, 0
	s_ashr_i32 s64, s12, 4
	v_cmp_ne_u32_e32 vcc, v15, v2
                                        ; implicit-def: $agpr20_agpr21
	s_and_saveexec_b64 s[6:7], vcc
	s_xor_b64 s[30:31], exec, s[6:7]
	s_cbranch_execz .LBB8_1157
; %bb.44:
	v_cmp_ne_u32_e32 vcc, v14, v2
	v_cmp_ne_u64_e64 s[6:7], 0, v[22:23]
                                        ; implicit-def: $agpr20_agpr21
	s_and_saveexec_b64 s[10:11], vcc
	s_xor_b64 s[34:35], exec, s[10:11]
	s_cbranch_execz .LBB8_606
; %bb.45:
	v_pk_mov_b32 v[2:3], 0, 0
	v_accvgpr_write_b32 a21, v3
	v_accvgpr_write_b32 a20, v2
	s_and_saveexec_b64 s[36:37], s[6:7]
	s_cbranch_execz .LBB8_605
; %bb.46:
	s_lshr_b32 s10, s64, 27
	s_add_i32 s10, s64, s10
	s_ashr_i32 s65, s10, 5
	v_cmp_ge_i32_e64 s[10:11], v0, v1
	v_cmp_eq_u32_e32 vcc, 64, v1
	v_cmp_ne_u32_e64 s[12:13], 64, v1
	s_waitcnt vmcnt(0)
	v_cmp_ne_u32_sdwa s[38:39], v19, v1 src0_sel:WORD_0 src1_sel:DWORD
	v_accvgpr_write_b32 a0, v1
	v_lshrrev_b32_e32 v36, 6, v1
	v_ashrrev_i32_e32 v1, 31, v0
	v_accvgpr_read_b32 v2, a16
	v_lshrrev_b32_e32 v1, 26, v1
	v_ashrrev_i32_e32 v37, 31, v2
	v_and_b32_e32 v2, 63, v31
	v_add_u32_e32 v1, v0, v1
	v_cmp_eq_u32_e64 s[14:15], 0, v2
	v_and_b32_e32 v2, 0xffffffc0, v1
	v_accvgpr_write_b32 a1, v31
	v_sub_u32_e32 v31, v0, v2
	v_ashrrev_i32_e32 v38, 6, v1
	v_lshlrev_b32_e32 v0, 4, v31
	v_lshl_add_u32 v48, v38, 11, v0
	v_mov_b32_e32 v0, 0xfffff800
	v_lshl_add_u32 v0, v36, 11, v0
	s_movk_i32 s66, 0x800
	v_ashrrev_i32_e32 v1, 31, v0
	v_accvgpr_write_b32 a30, v0
	v_add_co_u32_e64 v0, s[20:21], s66, v0
	v_accvgpr_write_b32 a31, v0
	v_addc_co_u32_e64 v0, s[20:21], 0, v1, s[20:21]
	v_accvgpr_write_b32 a32, v0
	v_lshrrev_b32_e64 v0, 6, s33
	v_add_u32_e32 v0, 0xc0, v0
	v_add_u32_e32 v49, 16, v0
	v_lshrrev_b32_e64 v0, 6, s33
	v_lshlrev_b32_e32 v50, 10, v36
	v_add_u32_e32 v0, 0xa0, v0
	v_add_u32_e32 v52, 0xfffffc00, v50
	s_movk_i32 s67, 0x400
	v_accvgpr_write_b32 a29, v1
	v_add_u32_e32 v54, 16, v0
	v_ashrrev_i32_e32 v51, 31, v52
	v_add_co_u32_e64 v53, s[20:21], s67, v52
	s_waitcnt lgkmcnt(0)
	v_accvgpr_read_b32 v0, a24
	v_addc_co_u32_e64 v55, s[20:21], 0, v51, s[20:21]
	v_accvgpr_read_b32 v1, a25
	v_cmp_eq_u64_e64 s[20:21], 0, v[0:1]
	v_mov_b32_e32 v0, 0xfffffe00
	v_lshl_add_u32 v40, v36, 9, v0
	s_movk_i32 s22, 0x200
	v_accvgpr_write_b32 a12, v26
	v_ashrrev_i32_e32 v41, 31, v40
	v_add_co_u32_e64 v44, s[22:23], s22, v40
	v_accvgpr_write_b32 a13, v27
	v_accvgpr_write_b32 a14, v28
	;; [unrolled: 1-line block ×3, first 2 shown]
	v_addc_co_u32_e64 v45, s[22:23], 0, v41, s[22:23]
	v_lshlrev_b32_e32 v27, 7, v36
	v_add_u32_e32 v0, 0xffffff80, v27
	s_movk_i32 s22, 0x80
	v_ashrrev_i32_e32 v1, 31, v0
	v_add_co_u32_e64 v28, s[22:23], s22, v0
	v_pk_mov_b32 v[56:57], 0, 0
	v_accvgpr_write_b32 a10, v24
	v_addc_co_u32_e64 v29, s[22:23], 0, v1, s[22:23]
	v_accvgpr_write_b32 a20, v56
	v_accvgpr_write_b32 a11, v25
	;; [unrolled: 1-line block ×3, first 2 shown]
	v_mov_b32_e32 v60, 0
	v_cmp_le_i32_e64 s[16:17], v31, v5
	v_cmp_lt_i32_e64 s[18:19], v31, v5
	v_ashrrev_i32_e32 v39, 31, v48
	s_mov_b64 s[40:41], 0
	v_accvgpr_write_b32 a44, v0
	v_accvgpr_write_b32 a45, v1
	s_movk_i32 s68, 0x270e
	s_movk_i32 s69, 0x108
	s_xor_b64 s[42:43], vcc, -1
	s_mov_b32 s70, 0x7f800000
	s_movk_i32 s71, 0x7fff
	s_mov_b32 s72, 0xffff0000
	v_mov_b32_e32 v58, 0x200
	v_mov_b32_e32 v59, 0x80
	v_accvgpr_write_b32 a21, v57
	v_accvgpr_write_b32 a43, v27
	;; [unrolled: 1-line block ×4, first 2 shown]
	s_trap 2
	s_branch .LBB8_49
.LBB8_47:                               ;   in Loop: Header=BB8_49 Depth=1
	s_or_b64 exec, exec, s[22:23]
.LBB8_48:                               ;   in Loop: Header=BB8_49 Depth=1
	s_or_b64 exec, exec, s[24:25]
	v_add_co_u32_e32 v56, vcc, v56, v34
	v_accvgpr_read_b32 v23, a5
	v_addc_co_u32_e32 v57, vcc, 0, v57, vcc
	v_accvgpr_read_b32 v22, a4
	v_cmp_ge_u64_e32 vcc, v[56:57], v[22:23]
	s_or_b64 s[40:41], vcc, s[40:41]
	s_andn2_b64 exec, exec, s[40:41]
	s_cbranch_execz .LBB8_604
.LBB8_49:                               ; =>This Loop Header: Depth=1
                                        ;     Child Loop BB8_58 Depth 2
                                        ;     Child Loop BB8_86 Depth 2
	;; [unrolled: 1-line block ×5, first 2 shown]
                                        ;       Child Loop BB8_330 Depth 3
                                        ;       Child Loop BB8_367 Depth 3
                                        ;     Child Loop BB8_444 Depth 2
                                        ;     Child Loop BB8_503 Depth 2
                                        ;       Child Loop BB8_504 Depth 3
                                        ;       Child Loop BB8_513 Depth 3
                                        ;     Child Loop BB8_534 Depth 2
                                        ;     Child Loop BB8_559 Depth 2
	;; [unrolled: 1-line block ×3, first 2 shown]
	v_sub_co_u32_e32 v0, vcc, v22, v56
	v_subb_co_u32_e32 v1, vcc, v23, v57, vcc
	v_cmp_lt_u64_e32 vcc, v[34:35], v[0:1]
	v_cndmask_b32_e64 v3, v1, 0, vcc
	v_cndmask_b32_e32 v2, v0, v34, vcc
	v_add_u32_e32 v0, 15, v2
	v_cmp_eq_u64_e32 vcc, 0, v[2:3]
	v_accvgpr_write_b32 a4, v22
	v_and_b32_e32 v0, 0x3ffffff0, v0
	s_or_b64 s[44:45], s[10:11], vcc
	v_accvgpr_write_b32 a5, v23
	v_max_i32_e32 v61, s65, v0
	v_accvgpr_write_b32 a48, v2
	s_xor_b64 s[22:23], s[44:45], -1
	v_mov_b32_e32 v1, 0
	s_and_saveexec_b64 s[46:47], s[22:23]
	s_cbranch_execz .LBB8_552
; %bb.50:                               ;   in Loop: Header=BB8_49 Depth=1
	s_and_saveexec_b64 s[22:23], s[4:5]
	s_cbranch_execz .LBB8_52
; %bb.51:                               ;   in Loop: Header=BB8_49 Depth=1
	s_trap 2
	ds_read_b64 v[0:1], v0
	v_accvgpr_read_b32 v2, a6
	v_accvgpr_read_b32 v3, a7
	v_lshlrev_b64 v[2:3], 1, v[2:3]
	v_mov_b32_e32 v59, 0x80
	s_waitcnt lgkmcnt(0)
	v_add_co_u32_e32 v2, vcc, v0, v2
	v_addc_co_u32_e32 v3, vcc, v1, v3, vcc
	v_lshlrev_b64 v[0:1], 1, v[56:57]
	v_add_co_u32_e32 v0, vcc, v2, v0
	v_addc_co_u32_e32 v1, vcc, v3, v1, vcc
	ds_write_b64 v0, v[0:1]
	v_mov_b32_e32 v0, v61
	v_mov_b32_e32 v61, v60
	ds_write_b64 v0, v[60:61]
	v_mov_b32_e32 v61, v0
	v_mov_b32_e32 v58, 0x200
.LBB8_52:                               ;   in Loop: Header=BB8_49 Depth=1
	s_or_b64 exec, exec, s[22:23]
	v_and_b32_e32 v0, 12, v62
	v_cmp_ne_u32_e32 vcc, 0, v0
	s_mov_b64 s[24:25], -1
	s_and_saveexec_b64 s[22:23], vcc
	s_cbranch_execz .LBB8_64
; %bb.53:                               ;   in Loop: Header=BB8_49 Depth=1
	v_and_b32_e32 v0, 8, v62
	v_add_co_u32_e32 v4, vcc, v46, v0
	s_waitcnt lgkmcnt(0)
	v_accvgpr_read_b32 v6, a12
	v_addc_co_u32_e32 v5, vcc, 0, v47, vcc
	v_accvgpr_read_b32 v8, a14
	v_accvgpr_read_b32 v9, a15
	v_add_co_u32_e32 v2, vcc, 1, v8
	v_addc_co_u32_e32 v3, vcc, 0, v9, vcc
	v_cmp_lt_u64_e32 vcc, v[4:5], v[2:3]
	v_mov_b32_e32 v1, 1
	v_accvgpr_read_b32 v7, a13
	s_and_saveexec_b64 s[24:25], vcc
	s_cbranch_execz .LBB8_63
; %bb.54:                               ;   in Loop: Header=BB8_49 Depth=1
	s_mov_b64 s[26:27], 0
	v_mov_b32_e32 v1, 0
                                        ; implicit-def: $sgpr48_sgpr49
	s_branch .LBB8_58
.LBB8_55:                               ;   in Loop: Header=BB8_58 Depth=2
	s_or_b64 exec, exec, s[56:57]
	v_mov_b32_e32 v4, 0
	s_orn2_b64 s[54:55], s[54:55], exec
.LBB8_56:                               ;   in Loop: Header=BB8_58 Depth=2
	s_or_b64 exec, exec, s[52:53]
	s_andn2_b64 vcc, s[48:49], exec
	s_and_b64 s[48:49], s[54:55], exec
	s_or_b64 s[48:49], vcc, s[48:49]
	v_mov_b32_e32 v1, v4
.LBB8_57:                               ;   in Loop: Header=BB8_58 Depth=2
	s_or_b64 exec, exec, s[50:51]
	s_waitcnt vmcnt(0) lgkmcnt(0)
	v_add_co_u32_e32 v4, vcc, v46, v0
	v_addc_co_u32_e32 v5, vcc, 0, v47, vcc
	v_cmp_ge_u64_e32 vcc, v[4:5], v[2:3]
	s_xor_b64 s[50:51], s[48:49], -1
	s_or_b64 vcc, s[50:51], vcc
	s_and_b64 vcc, exec, vcc
	s_or_b64 s[26:27], vcc, s[26:27]
	s_andn2_b64 exec, exec, s[26:27]
	s_cbranch_execz .LBB8_62
.LBB8_58:                               ;   Parent Loop BB8_49 Depth=1
                                        ; =>  This Inner Loop Header: Depth=2
	s_sleep 1
	flat_load_dwordx2 v[46:47], v[42:43] glc
	v_and_b32_e32 v4, 64, v62
	v_cmp_eq_u32_e32 vcc, 0, v4
	s_andn2_b64 s[48:49], s[48:49], exec
	s_and_saveexec_b64 s[50:51], vcc
	s_cbranch_execz .LBB8_57
; %bb.59:                               ;   in Loop: Header=BB8_58 Depth=2
	v_add_u32_e32 v4, 1, v1
	v_cmp_lt_i32_e32 vcc, s68, v1
	s_mov_b64 s[54:55], -1
	s_and_saveexec_b64 s[52:53], vcc
	s_cbranch_execz .LBB8_56
; %bb.60:                               ;   in Loop: Header=BB8_58 Depth=2
	s_trap 2
	ds_read_b64 v[4:5], v0
	s_waitcnt vmcnt(0) lgkmcnt(0)
	flat_load_dword v1, v[4:5] glc
	s_waitcnt vmcnt(0) lgkmcnt(0)
	buffer_invl2
	buffer_wbinvl1_vol
	v_cmp_ne_u32_e32 vcc, 0, v1
	s_and_saveexec_b64 s[56:57], vcc
	s_cbranch_execz .LBB8_55
; %bb.61:                               ;   in Loop: Header=BB8_58 Depth=2
	v_or_b32_e32 v62, 64, v62
	s_xor_b64 s[54:55], exec, -1
	ds_write_b32 v0, v1
	s_trap 2
	s_branch .LBB8_55
.LBB8_62:                               ;   in Loop: Header=BB8_49 Depth=1
	s_or_b64 exec, exec, s[26:27]
	v_and_b32_e32 v1, 12, v62
.LBB8_63:                               ;   in Loop: Header=BB8_49 Depth=1
	s_or_b64 exec, exec, s[24:25]
	v_cmp_eq_u32_e32 vcc, 0, v1
	s_orn2_b64 s[24:25], vcc, exec
	;;#ASMSTART
	s_wakeup
	;;#ASMEND
.LBB8_64:                               ;   in Loop: Header=BB8_49 Depth=1
	s_or_b64 exec, exec, s[22:23]
	v_accvgpr_read_b32 v0, a48
	s_xor_b64 s[22:23], s[24:25], -1
	v_min_u32_e32 v61, v61, v0
	s_and_saveexec_b64 s[24:25], s[22:23]
	s_cbranch_execz .LBB8_78
; %bb.65:                               ;   in Loop: Header=BB8_49 Depth=1
	v_and_b32_e32 v0, 0x108, v62
	v_cmp_ne_u32_e32 vcc, s69, v0
	v_accvgpr_read_b32 v0, a12
	v_accvgpr_read_b32 v2, a14
	;; [unrolled: 1-line block ×3, first 2 shown]
	v_and_b32_e32 v0, 7, v2
	v_accvgpr_read_b32 v1, a13
	s_and_saveexec_b64 s[22:23], vcc
	s_xor_b64 s[22:23], exec, s[22:23]
                                        ; implicit-def: $vgpr2_vgpr3
; %bb.66:                               ;   in Loop: Header=BB8_49 Depth=1
	v_mov_b32_e32 v3, v60
; %bb.67:                               ;   in Loop: Header=BB8_49 Depth=1
	s_andn2_saveexec_b64 s[22:23], s[22:23]
	s_cbranch_execz .LBB8_69
; %bb.68:                               ;   in Loop: Header=BB8_49 Depth=1
	s_waitcnt lgkmcnt(0)
	v_accvgpr_read_b32 v4, a12
	v_accvgpr_read_b32 v5, a13
	;; [unrolled: 1-line block ×4, first 2 shown]
	v_mov_b32_e32 v3, v60
	v_mad_u64_u32 v[4:5], s[26:27], v0, 24, v[4:5]
	v_lshlrev_b32_e32 v6, 1, v61
	v_mov_b32_e32 v7, v60
	flat_store_dwordx2 v[4:5], v[6:7] offset:8
.LBB8_69:                               ;   in Loop: Header=BB8_49 Depth=1
	s_or_b64 exec, exec, s[22:23]
	v_and_b32_e32 v1, 0x100, v62
	v_cmp_ne_u32_e32 vcc, 0, v1
	s_mov_b64 s[22:23], -1
                                        ; implicit-def: $vgpr10_vgpr11
	s_and_saveexec_b64 s[26:27], vcc
	s_cbranch_execz .LBB8_73
; %bb.70:                               ;   in Loop: Header=BB8_49 Depth=1
	s_waitcnt lgkmcnt(0)
	v_accvgpr_read_b32 v4, a12
	v_accvgpr_read_b32 v5, a13
	v_mad_u64_u32 v[12:13], s[22:23], v0, 24, v[4:5]
	v_mov_b32_e32 v2, v13
	v_mad_u64_u32 v[4:5], s[22:23], v3, 24, v[2:3]
	v_mov_b32_e32 v13, v4
	flat_load_dword v1, v[12:13]
	v_accvgpr_read_b32 v6, a14
	v_accvgpr_read_b32 v7, a15
                                        ; implicit-def: $vgpr10_vgpr11
	s_waitcnt vmcnt(0) lgkmcnt(0)
	v_cmp_ne_u32_e32 vcc, 1, v1
	v_cmp_eq_u32_e64 s[22:23], 1, v1
	s_and_saveexec_b64 s[48:49], s[22:23]
	s_cbranch_execz .LBB8_72
; %bb.71:                               ;   in Loop: Header=BB8_49 Depth=1
	flat_load_dword v4, v[12:13] offset:4 glc
	s_waitcnt vmcnt(0) lgkmcnt(0)
	v_ashrrev_i32_e32 v5, 31, v4
	v_lshrrev_b64 v[10:11], 1, v[4:5]
.LBB8_72:                               ;   in Loop: Header=BB8_49 Depth=1
	s_or_b64 exec, exec, s[48:49]
	s_orn2_b64 s[22:23], vcc, exec
.LBB8_73:                               ;   in Loop: Header=BB8_49 Depth=1
	s_or_b64 exec, exec, s[26:27]
	s_and_saveexec_b64 s[26:27], s[22:23]
; %bb.74:                               ;   in Loop: Header=BB8_49 Depth=1
	v_accvgpr_read_b32 v4, a16
	v_mul_lo_u32 v1, v3, v4
	v_mul_lo_u32 v2, v0, v37
	v_mad_u64_u32 v[10:11], s[22:23], v0, v4, 0
	v_add3_u32 v11, v11, v2, v1
; %bb.75:                               ;   in Loop: Header=BB8_49 Depth=1
	s_or_b64 exec, exec, s[26:27]
	v_lshlrev_b64 v[0:1], 1, v[10:11]
	v_accvgpr_read_b32 v2, a18
	v_accvgpr_read_b32 v3, a19
	v_add_co_u32_e32 v0, vcc, v2, v0
	v_addc_co_u32_e32 v1, vcc, v3, v1, vcc
	s_trap 2
	ds_write_b64 v0, v[0:1]
	v_and_b32_e32 v0, 0x2000, v62
	v_cmp_ne_u32_e32 vcc, 0, v0
	s_and_saveexec_b64 s[22:23], vcc
	s_cbranch_execz .LBB8_77
; %bb.76:                               ;   in Loop: Header=BB8_49 Depth=1
	ds_read_b64 v[0:1], v0 offset:584
	s_waitcnt lgkmcnt(0)
	v_add_co_u32_e32 v0, vcc, 1, v0
	v_addc_co_u32_e32 v1, vcc, 0, v1, vcc
	ds_write_b64 v0, v[0:1] offset:584
.LBB8_77:                               ;   in Loop: Header=BB8_49 Depth=1
	s_or_b64 exec, exec, s[22:23]
	v_accvgpr_read_b32 v0, a12
	v_accvgpr_read_b32 v2, a14
	;; [unrolled: 1-line block ×3, first 2 shown]
	v_add_co_u32_e32 v2, vcc, 1, v2
	v_addc_co_u32_e32 v3, vcc, 0, v3, vcc
	v_accvgpr_read_b32 v1, a13
	v_accvgpr_write_b32 a15, v3
	v_accvgpr_write_b32 a14, v2
	;; [unrolled: 1-line block ×4, first 2 shown]
.LBB8_78:                               ;   in Loop: Header=BB8_49 Depth=1
	s_or_b64 exec, exec, s[24:25]
	s_and_saveexec_b64 s[22:23], s[12:13]
	s_cbranch_execz .LBB8_97
; %bb.79:                               ;   in Loop: Header=BB8_49 Depth=1
	s_and_saveexec_b64 s[24:25], s[38:39]
	s_xor_b64 s[24:25], exec, s[24:25]
	s_cbranch_execz .LBB8_94
; %bb.80:                               ;   in Loop: Header=BB8_49 Depth=1
	s_and_saveexec_b64 s[26:27], s[14:15]
	s_cbranch_execz .LBB8_93
; %bb.81:                               ;   in Loop: Header=BB8_49 Depth=1
	s_mov_b64 s[50:51], exec
	v_mbcnt_lo_u32_b32 v0, s50, 0
	v_mbcnt_hi_u32_b32 v0, s51, v0
	v_cmp_eq_u32_e32 vcc, 0, v0
	s_waitcnt vmcnt(0) lgkmcnt(0)
	buffer_wbinvl1_vol
	s_and_saveexec_b64 s[48:49], vcc
	s_cbranch_execz .LBB8_83
; %bb.82:                               ;   in Loop: Header=BB8_49 Depth=1
	s_bcnt1_i32_b64 vcc_lo, s[50:51]
	v_mov_b32_e32 v0, vcc_lo
	v_mov_b32_e32 v1, v60
	ds_add_u64 v0, v[0:1]
	s_trap 2
.LBB8_83:                               ;   in Loop: Header=BB8_49 Depth=1
	s_or_b64 exec, exec, s[48:49]
	s_trap 2
	ds_read_b64 v[0:1], v0
	v_accvgpr_read_b32 v2, a20
	v_accvgpr_read_b32 v3, a21
	v_add_co_u32_e32 v2, vcc, v2, v36
	v_addc_co_u32_e32 v3, vcc, 0, v3, vcc
	v_accvgpr_write_b32 a21, v3
	v_accvgpr_write_b32 a20, v2
	s_waitcnt lgkmcnt(0)
	v_cmp_lt_u64_e32 vcc, v[0:1], v[2:3]
	s_and_saveexec_b64 s[48:49], vcc
	s_cbranch_execz .LBB8_92
; %bb.84:                               ;   in Loop: Header=BB8_49 Depth=1
	s_mov_b32 s60, 0
	s_mov_b64 s[50:51], 0
                                        ; implicit-def: $sgpr52_sgpr53
                                        ; implicit-def: $sgpr54_sgpr55
	s_branch .LBB8_86
.LBB8_85:                               ;   in Loop: Header=BB8_86 Depth=2
	s_or_b64 exec, exec, s[58:59]
	s_and_b64 vcc, exec, vcc
	s_or_b64 s[50:51], vcc, s[50:51]
	s_andn2_b64 vcc, s[52:53], exec
	s_and_b64 s[52:53], s[54:55], exec
	s_or_b64 s[52:53], vcc, s[52:53]
	s_andn2_b64 exec, exec, s[50:51]
	s_cbranch_execz .LBB8_90
.LBB8_86:                               ;   Parent Loop BB8_49 Depth=1
                                        ; =>  This Inner Loop Header: Depth=2
	s_add_i32 s60, s60, 1
	s_cmpk_lg_i32 s60, 0x2710
	s_cselect_b64 s[56:57], -1, 0
	s_and_b64 vcc, exec, s[56:57]
                                        ; implicit-def: $sgpr58_sgpr59
	s_cbranch_vccnz .LBB8_88
; %bb.87:                               ;   in Loop: Header=BB8_86 Depth=2
	s_trap 2
	ds_read_b64 v[0:1], v0
	s_andn2_b64 s[56:57], s[56:57], exec
	s_mov_b32 s60, 0
	s_mov_b64 s[58:59], -1
	s_waitcnt lgkmcnt(0)
	flat_load_dword v0, v[0:1] glc
	s_waitcnt vmcnt(0) lgkmcnt(0)
	buffer_invl2
	buffer_wbinvl1_vol
	v_cmp_eq_u32_e32 vcc, 0, v0
	s_and_b64 vcc, vcc, exec
	s_or_b64 s[56:57], s[56:57], vcc
.LBB8_88:                               ;   in Loop: Header=BB8_86 Depth=2
	s_andn2_b64 s[54:55], s[54:55], exec
	s_and_b64 s[58:59], s[58:59], exec
	s_mov_b64 vcc, -1
	s_or_b64 s[54:55], s[54:55], s[58:59]
	s_and_saveexec_b64 s[58:59], s[56:57]
	s_cbranch_execz .LBB8_85
; %bb.89:                               ;   in Loop: Header=BB8_86 Depth=2
	s_sleep 1
	s_trap 2
	ds_read_b64 v[0:1], v0
	v_accvgpr_read_b32 v2, a20
	v_accvgpr_read_b32 v3, a21
	s_andn2_b64 s[54:55], s[54:55], exec
	s_waitcnt lgkmcnt(0)
	v_cmp_ge_u64_e32 vcc, v[0:1], v[2:3]
	s_orn2_b64 vcc, vcc, exec
	s_branch .LBB8_85
.LBB8_90:                               ;   in Loop: Header=BB8_49 Depth=1
	s_or_b64 exec, exec, s[50:51]
	s_and_saveexec_b64 vcc, s[52:53]
	s_xor_b64 vcc, exec, vcc
	s_cbranch_execz .LBB8_92
; %bb.91:                               ;   in Loop: Header=BB8_49 Depth=1
	v_mov_b32_e32 v0, 1
	ds_write_b32 v0, v0
	s_trap 2
.LBB8_92:                               ;   in Loop: Header=BB8_49 Depth=1
	s_or_b64 exec, exec, s[48:49]
	;;#ASMSTART
	s_wakeup
	;;#ASMEND
.LBB8_93:                               ;   in Loop: Header=BB8_49 Depth=1
	s_or_b64 exec, exec, s[26:27]
.LBB8_94:                               ;   in Loop: Header=BB8_49 Depth=1
	s_andn2_saveexec_b64 s[24:25], s[24:25]
	s_cbranch_execz .LBB8_96
; %bb.95:                               ;   in Loop: Header=BB8_49 Depth=1
	s_waitcnt vmcnt(0) lgkmcnt(0)
	buffer_wbinvl1_vol
	s_barrier
.LBB8_96:                               ;   in Loop: Header=BB8_49 Depth=1
	s_or_b64 exec, exec, s[24:25]
.LBB8_97:                               ;   in Loop: Header=BB8_49 Depth=1
	s_or_b64 exec, exec, s[22:23]
	s_trap 2
	ds_read_b32 v0, v0
	v_and_b32_e32 v1, 0x4000, v62
	v_cmp_ne_u32_e32 vcc, 0, v1
	s_and_b64 s[24:25], s[42:43], vcc
	s_and_saveexec_b64 s[22:23], s[24:25]
	s_cbranch_execz .LBB8_116
; %bb.98:                               ;   in Loop: Header=BB8_49 Depth=1
	s_and_saveexec_b64 s[24:25], s[38:39]
	s_xor_b64 s[24:25], exec, s[24:25]
	s_cbranch_execz .LBB8_113
; %bb.99:                               ;   in Loop: Header=BB8_49 Depth=1
	s_and_saveexec_b64 s[26:27], s[14:15]
	s_cbranch_execz .LBB8_112
; %bb.100:                              ;   in Loop: Header=BB8_49 Depth=1
	s_mov_b64 s[50:51], exec
	v_mbcnt_lo_u32_b32 v1, s50, 0
	v_mbcnt_hi_u32_b32 v1, s51, v1
	v_cmp_eq_u32_e32 vcc, 0, v1
	s_waitcnt vmcnt(0) lgkmcnt(0)
	buffer_wbinvl1_vol
	s_and_saveexec_b64 s[48:49], vcc
	s_cbranch_execz .LBB8_102
; %bb.101:                              ;   in Loop: Header=BB8_49 Depth=1
	s_bcnt1_i32_b64 vcc_lo, s[50:51]
	v_mov_b32_e32 v2, vcc_lo
	v_mov_b32_e32 v3, v60
	ds_add_u64 v0, v[2:3]
	s_trap 2
.LBB8_102:                              ;   in Loop: Header=BB8_49 Depth=1
	s_or_b64 exec, exec, s[48:49]
	s_trap 2
	ds_read_b64 v[2:3], v0
	v_accvgpr_read_b32 v4, a20
	v_accvgpr_read_b32 v5, a21
	v_add_co_u32_e32 v4, vcc, v4, v36
	v_addc_co_u32_e32 v5, vcc, 0, v5, vcc
	v_accvgpr_write_b32 a21, v5
	v_accvgpr_write_b32 a20, v4
	s_waitcnt lgkmcnt(0)
	v_cmp_lt_u64_e32 vcc, v[2:3], v[4:5]
	s_and_saveexec_b64 s[48:49], vcc
	s_cbranch_execz .LBB8_111
; %bb.103:                              ;   in Loop: Header=BB8_49 Depth=1
	s_mov_b32 s60, 0
	s_mov_b64 s[50:51], 0
                                        ; implicit-def: $sgpr52_sgpr53
                                        ; implicit-def: $sgpr54_sgpr55
	s_branch .LBB8_105
.LBB8_104:                              ;   in Loop: Header=BB8_105 Depth=2
	s_or_b64 exec, exec, s[58:59]
	s_and_b64 vcc, exec, vcc
	s_or_b64 s[50:51], vcc, s[50:51]
	s_andn2_b64 vcc, s[52:53], exec
	s_and_b64 s[52:53], s[54:55], exec
	s_or_b64 s[52:53], vcc, s[52:53]
	s_andn2_b64 exec, exec, s[50:51]
	s_cbranch_execz .LBB8_109
.LBB8_105:                              ;   Parent Loop BB8_49 Depth=1
                                        ; =>  This Inner Loop Header: Depth=2
	s_add_i32 s60, s60, 1
	s_cmpk_lg_i32 s60, 0x2710
	s_cselect_b64 s[56:57], -1, 0
	s_and_b64 vcc, exec, s[56:57]
                                        ; implicit-def: $sgpr58_sgpr59
	s_cbranch_vccnz .LBB8_107
; %bb.106:                              ;   in Loop: Header=BB8_105 Depth=2
	s_trap 2
	ds_read_b64 v[2:3], v0
	s_andn2_b64 s[56:57], s[56:57], exec
	s_mov_b32 s60, 0
	s_mov_b64 s[58:59], -1
	s_waitcnt lgkmcnt(0)
	flat_load_dword v1, v[2:3] glc
	s_waitcnt vmcnt(0) lgkmcnt(0)
	buffer_invl2
	buffer_wbinvl1_vol
	v_cmp_eq_u32_e32 vcc, 0, v1
	s_and_b64 vcc, vcc, exec
	s_or_b64 s[56:57], s[56:57], vcc
.LBB8_107:                              ;   in Loop: Header=BB8_105 Depth=2
	s_andn2_b64 s[54:55], s[54:55], exec
	s_and_b64 s[58:59], s[58:59], exec
	s_mov_b64 vcc, -1
	s_or_b64 s[54:55], s[54:55], s[58:59]
	s_and_saveexec_b64 s[58:59], s[56:57]
	s_cbranch_execz .LBB8_104
; %bb.108:                              ;   in Loop: Header=BB8_105 Depth=2
	s_sleep 1
	s_trap 2
	ds_read_b64 v[2:3], v0
	v_accvgpr_read_b32 v4, a20
	v_accvgpr_read_b32 v5, a21
	s_andn2_b64 s[54:55], s[54:55], exec
	s_waitcnt lgkmcnt(0)
	v_cmp_ge_u64_e32 vcc, v[2:3], v[4:5]
	s_orn2_b64 vcc, vcc, exec
	s_branch .LBB8_104
.LBB8_109:                              ;   in Loop: Header=BB8_49 Depth=1
	s_or_b64 exec, exec, s[50:51]
	s_and_saveexec_b64 vcc, s[52:53]
	s_xor_b64 vcc, exec, vcc
	s_cbranch_execz .LBB8_111
; %bb.110:                              ;   in Loop: Header=BB8_49 Depth=1
	v_mov_b32_e32 v1, 1
	ds_write_b32 v0, v1
	s_trap 2
.LBB8_111:                              ;   in Loop: Header=BB8_49 Depth=1
	s_or_b64 exec, exec, s[48:49]
	;;#ASMSTART
	s_wakeup
	;;#ASMEND
.LBB8_112:                              ;   in Loop: Header=BB8_49 Depth=1
	s_or_b64 exec, exec, s[26:27]
.LBB8_113:                              ;   in Loop: Header=BB8_49 Depth=1
	s_andn2_saveexec_b64 s[24:25], s[24:25]
	s_cbranch_execz .LBB8_115
; %bb.114:                              ;   in Loop: Header=BB8_49 Depth=1
	s_waitcnt vmcnt(0) lgkmcnt(0)
	buffer_wbinvl1_vol
	s_barrier
.LBB8_115:                              ;   in Loop: Header=BB8_49 Depth=1
	s_or_b64 exec, exec, s[24:25]
.LBB8_116:                              ;   in Loop: Header=BB8_49 Depth=1
	s_or_b64 exec, exec, s[22:23]
	s_trap 2
	s_waitcnt lgkmcnt(0)
	ds_read_b64 v[2:3], v0
	s_waitcnt lgkmcnt(0)
	v_readfirstlane_b32 s22, v2
	v_readfirstlane_b32 s23, v3
	s_cmp_eq_u64 s[22:23], 0
	s_cselect_b64 s[22:23], -1, 0
	s_or_b64 s[24:25], s[22:23], s[22:23]
	s_mov_b64 s[22:23], 0
	s_and_b64 vcc, exec, s[24:25]
	s_cbranch_vccnz .LBB8_526
; %bb.117:                              ;   in Loop: Header=BB8_49 Depth=1
	s_mov_b64 s[22:23], -1
	s_and_saveexec_b64 s[24:25], s[16:17]
	s_cbranch_execz .LBB8_119
; %bb.118:                              ;   in Loop: Header=BB8_49 Depth=1
	ds_read_b32 v1, v0 offset:720
	s_waitcnt lgkmcnt(0)
	v_and_b32_e32 v1, 15, v1
	v_cmp_eq_u32_e32 vcc, 0, v1
	s_orn2_b64 s[22:23], vcc, exec
.LBB8_119:                              ;   in Loop: Header=BB8_49 Depth=1
	s_or_b64 exec, exec, s[24:25]
	s_and_saveexec_b64 s[24:25], s[18:19]
	s_cbranch_execz .LBB8_121
; %bb.120:                              ;   in Loop: Header=BB8_49 Depth=1
	ds_read_b32 v1, v0 offset:784
	s_waitcnt lgkmcnt(0)
	v_and_b32_e32 v1, 15, v1
	v_cmp_eq_u32_e32 vcc, 0, v1
	s_and_b64 s[26:27], s[22:23], vcc
	s_andn2_b64 s[22:23], s[22:23], exec
	s_and_b64 s[26:27], s[26:27], exec
	s_or_b64 s[22:23], s[22:23], s[26:27]
.LBB8_121:                              ;   in Loop: Header=BB8_49 Depth=1
	s_or_b64 exec, exec, s[24:25]
	s_xor_b64 s[22:23], s[22:23], -1
	v_cmp_eq_u32_e32 vcc, 0, v0
	v_cndmask_b32_e64 v0, 0, 1, s[22:23]
	;;#ASMSTART
	;;#ASMEND
	s_trap 2
	ds_read_b64 v[6:7], v0
	v_cndmask_b32_e32 v5, 0, v61, vcc
	v_mov_b32_e32 v19, 0
	v_lshlrev_b32_e32 v3, 1, v5
	s_mov_b64 s[22:23], -1
	v_cmp_ne_u32_e32 vcc, 0, v0
	v_accvgpr_write_b32 a50, v5
	s_cbranch_vccz .LBB8_123
; %bb.122:                              ;   in Loop: Header=BB8_49 Depth=1
	v_mov_b32_e32 v20, v31
	v_mov_b32_e32 v0, v38
	s_and_saveexec_b64 s[26:27], s[22:23]
	s_cbranch_execnz .LBB8_441
	s_branch .LBB8_525
.LBB8_123:                              ;   in Loop: Header=BB8_49 Depth=1
	v_lshrrev_b32_e32 v0, 10, v5
	v_accvgpr_write_b32 a49, v61
	v_accvgpr_write_b32 a54, v0
	v_sub_u32_e32 v61, v0, v38
	s_waitcnt lgkmcnt(0)
	v_add_co_u32_e32 v0, vcc, v6, v48
	v_accvgpr_write_b32 a53, v7
	v_addc_co_u32_e32 v1, vcc, v7, v39, vcc
	v_accvgpr_write_b32 a51, v3
	v_accvgpr_write_b32 a52, v6
	v_cmp_lt_i32_e32 vcc, 0, v61
	s_mov_b64 s[24:25], 0
                                        ; implicit-def: $vgpr22_vgpr23
                                        ; implicit-def: $vgpr18_vgpr19
                                        ; implicit-def: $vgpr14_vgpr15
                                        ; implicit-def: $vgpr10_vgpr11
	s_and_saveexec_b64 s[22:23], vcc
	s_cbranch_execz .LBB8_259
; %bb.124:                              ;   in Loop: Header=BB8_49 Depth=1
	s_trap 2
	ds_read_b128 v[2:5], v0
	v_accvgpr_write_b32 a41, v44
	v_accvgpr_write_b32 a22, v34
	;; [unrolled: 1-line block ×4, first 2 shown]
	s_waitcnt lgkmcnt(0)
	v_add_co_u32_e32 v2, vcc, v2, v48
	v_addc_co_u32_e32 v3, vcc, v3, v39, vcc
	v_add_co_u32_e32 v44, vcc, v4, v48
	v_accvgpr_write_b32 a40, v40
	v_accvgpr_write_b32 a38, v55
	;; [unrolled: 1-line block ×9, first 2 shown]
	v_mov_b32_e32 v9, v37
	v_accvgpr_write_b32 a23, v35
	v_accvgpr_write_b32 a28, v48
	;; [unrolled: 1-line block ×3, first 2 shown]
	v_addc_co_u32_e32 v45, vcc, v5, v39, vcc
	s_mov_b64 s[48:49], 0
                                        ; implicit-def: $sgpr26_sgpr27
                                        ; implicit-def: $vgpr12_vgpr13
                                        ; implicit-def: $vgpr16_vgpr17
                                        ; implicit-def: $vgpr20_vgpr21
                                        ; implicit-def: $vgpr24_vgpr25
	s_branch .LBB8_126
.LBB8_125:                              ;   in Loop: Header=BB8_126 Depth=2
	s_or_b64 exec, exec, s[50:51]
	v_lshrrev_b32_e32 v2, 16, v55
	v_and_or_b32 v49, v49, s72, v2
	v_lshrrev_b32_e32 v2, 16, v58
	v_and_or_b32 v48, v48, s72, v2
	;; [unrolled: 2-line block ×5, first 2 shown]
	v_lshrrev_b32_e32 v4, 16, v5
	v_lshrrev_b32_e32 v2, 16, v37
	v_and_or_b32 v4, v28, s72, v4
	v_lshrrev_b32_e32 v5, 16, v6
	v_and_or_b32 v2, v32, s72, v2
	v_and_or_b32 v5, v7, s72, v5
	global_store_dwordx4 v[0:1], v[48:51], off glc slc
	global_store_dwordx4 v[0:1], v[2:5], off offset:1024 glc slc
	v_accvgpr_read_b32 v7, a31
	v_accvgpr_read_b32 v4, a30
	v_add_co_u32_e32 v2, vcc, v52, v4
	v_accvgpr_read_b32 v5, a29
	v_addc_co_u32_e32 v3, vcc, v53, v5, vcc
	v_add_co_u32_e32 v4, vcc, v44, v4
	v_mov_b32_e32 v8, 0x800
	v_addc_co_u32_e32 v5, vcc, v45, v5, vcc
	v_accvgpr_read_b32 v6, a32
	v_cndmask_b32_e64 v7, v8, v7, s[48:49]
	v_accvgpr_read_b32 v36, a26
	v_cndmask_b32_e64 v6, 0, v6, s[48:49]
	v_add_co_u32_e32 v0, vcc, v0, v7
	v_cndmask_b32_e64 v44, v44, v4, s[48:49]
	v_cndmask_b32_e64 v4, 0, v36, s[48:49]
	v_addc_co_u32_e32 v1, vcc, v1, v6, vcc
	v_sub_u32_e32 v61, v61, v4
	v_cmp_gt_i32_e32 vcc, 1, v61
	s_or_b64 s[24:25], vcc, s[24:25]
	s_andn2_b64 s[26:27], s[26:27], exec
	s_and_b64 vcc, s[48:49], exec
	v_cndmask_b32_e64 v3, v53, v3, s[48:49]
	v_cndmask_b32_e64 v2, v52, v2, s[48:49]
	;; [unrolled: 1-line block ×3, first 2 shown]
	s_or_b64 s[26:27], s[26:27], vcc
	s_andn2_b64 exec, exec, s[24:25]
	s_cbranch_execz .LBB8_258
.LBB8_126:                              ;   Parent Loop BB8_49 Depth=1
                                        ; =>  This Inner Loop Header: Depth=2
	v_accvgpr_write_b32 a26, v36
	global_load_dwordx4 v[48:51], v[2:3], off glc slc
	global_load_dwordx4 v[32:35], v[2:3], off offset:1024 glc slc
	global_load_dwordx4 v[36:39], v[44:45], off glc slc
	global_load_dwordx4 v[26:29], v[44:45], off offset:1024 glc slc
	s_and_saveexec_b64 s[50:51], s[48:49]
	s_cbranch_execz .LBB8_192
; %bb.127:                              ;   in Loop: Header=BB8_126 Depth=2
	v_lshlrev_b32_e32 v4, 16, v22
	v_lshlrev_b32_e32 v6, 16, v18
	v_pk_add_f32 v[52:53], v[4:5], v[6:7] op_sel_hi:[0,1]
	v_and_b32_e32 v4, 0x7f800000, v52
	v_cmp_ne_u32_e32 vcc, s70, v4
                                        ; implicit-def: $vgpr58
	s_and_saveexec_b64 s[48:49], vcc
	s_xor_b64 vcc, exec, s[48:49]
; %bb.128:                              ;   in Loop: Header=BB8_126 Depth=2
	v_bfe_u32 v4, v52, 16, 1
	v_add3_u32 v58, v52, v4, s71
                                        ; implicit-def: $vgpr52_vgpr53
; %bb.129:                              ;   in Loop: Header=BB8_126 Depth=2
	s_andn2_saveexec_b64 s[48:49], vcc
; %bb.130:                              ;   in Loop: Header=BB8_126 Depth=2
	v_or_b32_e32 v4, 0x10000, v52
	v_cmp_eq_u32_sdwa vcc, v52, v60 src0_sel:WORD_0 src1_sel:DWORD
	v_cndmask_b32_e32 v58, v4, v52, vcc
; %bb.131:                              ;   in Loop: Header=BB8_126 Depth=2
	s_or_b64 exec, exec, s[48:49]
	v_mov_b32_e32 v4, v18
	v_mov_b32_e32 v5, v22
	v_and_b32_e32 v6, 0xffff0000, v5
	v_and_b32_e32 v4, 0xffff0000, v4
	v_pk_add_f32 v[52:53], v[6:7], v[4:5] op_sel_hi:[0,1]
	v_and_b32_e32 v4, 0x7f800000, v52
	v_cmp_ne_u32_e32 vcc, s70, v4
                                        ; implicit-def: $vgpr59
	s_and_saveexec_b64 s[48:49], vcc
	s_xor_b64 vcc, exec, s[48:49]
; %bb.132:                              ;   in Loop: Header=BB8_126 Depth=2
	v_bfe_u32 v4, v52, 16, 1
	v_add3_u32 v59, v52, v4, s71
                                        ; implicit-def: $vgpr52_vgpr53
; %bb.133:                              ;   in Loop: Header=BB8_126 Depth=2
	s_andn2_saveexec_b64 s[48:49], vcc
; %bb.134:                              ;   in Loop: Header=BB8_126 Depth=2
	v_or_b32_e32 v4, 0x10000, v52
	v_cmp_eq_u32_sdwa vcc, v52, v60 src0_sel:WORD_0 src1_sel:DWORD
	v_cndmask_b32_e32 v59, v4, v52, vcc
; %bb.135:                              ;   in Loop: Header=BB8_126 Depth=2
	s_or_b64 exec, exec, s[48:49]
	v_lshlrev_b32_e32 v4, 16, v23
	v_lshlrev_b32_e32 v6, 16, v19
	v_pk_add_f32 v[52:53], v[4:5], v[6:7] op_sel_hi:[0,1]
	v_and_b32_e32 v4, 0x7f800000, v52
	v_cmp_ne_u32_e32 vcc, s70, v4
                                        ; implicit-def: $vgpr55
	s_and_saveexec_b64 s[48:49], vcc
	s_xor_b64 vcc, exec, s[48:49]
; %bb.136:                              ;   in Loop: Header=BB8_126 Depth=2
	v_bfe_u32 v4, v52, 16, 1
	v_add3_u32 v55, v52, v4, s71
                                        ; implicit-def: $vgpr52_vgpr53
; %bb.137:                              ;   in Loop: Header=BB8_126 Depth=2
	s_andn2_saveexec_b64 s[48:49], vcc
; %bb.138:                              ;   in Loop: Header=BB8_126 Depth=2
	v_or_b32_e32 v4, 0x10000, v52
	v_cmp_eq_u32_sdwa vcc, v52, v60 src0_sel:WORD_0 src1_sel:DWORD
	v_cndmask_b32_e32 v55, v4, v52, vcc
; %bb.139:                              ;   in Loop: Header=BB8_126 Depth=2
	s_or_b64 exec, exec, s[48:49]
	v_mov_b32_e32 v4, v19
	v_and_b32_e32 v6, 0xffff0000, v23
	v_and_b32_e32 v4, 0xffff0000, v4
	v_pk_add_f32 v[22:23], v[6:7], v[4:5] op_sel_hi:[0,1]
	v_and_b32_e32 v4, 0x7f800000, v22
	v_cmp_ne_u32_e32 vcc, s70, v4
                                        ; implicit-def: $vgpr52
	s_and_saveexec_b64 s[48:49], vcc
	s_xor_b64 vcc, exec, s[48:49]
; %bb.140:                              ;   in Loop: Header=BB8_126 Depth=2
	v_bfe_u32 v4, v22, 16, 1
	v_add3_u32 v52, v22, v4, s71
                                        ; implicit-def: $vgpr22_vgpr23
; %bb.141:                              ;   in Loop: Header=BB8_126 Depth=2
	s_andn2_saveexec_b64 s[48:49], vcc
; %bb.142:                              ;   in Loop: Header=BB8_126 Depth=2
	v_or_b32_e32 v4, 0x10000, v22
	v_cmp_eq_u32_sdwa vcc, v22, v60 src0_sel:WORD_0 src1_sel:DWORD
	v_cndmask_b32_e32 v52, v4, v22, vcc
; %bb.143:                              ;   in Loop: Header=BB8_126 Depth=2
	s_or_b64 exec, exec, s[48:49]
	v_lshlrev_b32_e32 v4, 16, v24
	v_lshlrev_b32_e32 v6, 16, v20
	v_pk_add_f32 v[22:23], v[4:5], v[6:7] op_sel_hi:[0,1]
	v_and_b32_e32 v4, 0x7f800000, v22
	v_cmp_ne_u32_e32 vcc, s70, v4
                                        ; implicit-def: $vgpr53
	s_and_saveexec_b64 s[48:49], vcc
	s_xor_b64 vcc, exec, s[48:49]
; %bb.144:                              ;   in Loop: Header=BB8_126 Depth=2
	v_bfe_u32 v4, v22, 16, 1
	v_add3_u32 v53, v22, v4, s71
                                        ; implicit-def: $vgpr22_vgpr23
; %bb.145:                              ;   in Loop: Header=BB8_126 Depth=2
	s_andn2_saveexec_b64 s[48:49], vcc
; %bb.146:                              ;   in Loop: Header=BB8_126 Depth=2
	v_or_b32_e32 v4, 0x10000, v22
	v_cmp_eq_u32_sdwa vcc, v22, v60 src0_sel:WORD_0 src1_sel:DWORD
	v_cndmask_b32_e32 v53, v4, v22, vcc
; %bb.147:                              ;   in Loop: Header=BB8_126 Depth=2
	s_or_b64 exec, exec, s[48:49]
	v_mov_b32_e32 v4, v20
	v_mov_b32_e32 v5, v24
	v_and_b32_e32 v6, 0xffff0000, v5
	v_and_b32_e32 v4, 0xffff0000, v4
	v_pk_add_f32 v[22:23], v[6:7], v[4:5] op_sel_hi:[0,1]
	v_and_b32_e32 v4, 0x7f800000, v22
	v_cmp_ne_u32_e32 vcc, s70, v4
                                        ; implicit-def: $vgpr24
	s_and_saveexec_b64 s[48:49], vcc
	s_xor_b64 vcc, exec, s[48:49]
; %bb.148:                              ;   in Loop: Header=BB8_126 Depth=2
	v_bfe_u32 v4, v22, 16, 1
	v_add3_u32 v24, v22, v4, s71
                                        ; implicit-def: $vgpr22_vgpr23
; %bb.149:                              ;   in Loop: Header=BB8_126 Depth=2
	s_andn2_saveexec_b64 s[48:49], vcc
; %bb.150:                              ;   in Loop: Header=BB8_126 Depth=2
	v_or_b32_e32 v4, 0x10000, v22
	v_cmp_eq_u32_sdwa vcc, v22, v60 src0_sel:WORD_0 src1_sel:DWORD
	v_cndmask_b32_e32 v24, v4, v22, vcc
; %bb.151:                              ;   in Loop: Header=BB8_126 Depth=2
	s_or_b64 exec, exec, s[48:49]
	v_lshlrev_b32_e32 v4, 16, v25
	v_lshlrev_b32_e32 v6, 16, v21
	v_pk_add_f32 v[22:23], v[4:5], v[6:7] op_sel_hi:[0,1]
	v_and_b32_e32 v4, 0x7f800000, v22
	v_cmp_ne_u32_e32 vcc, s70, v4
                                        ; implicit-def: $vgpr30
	s_and_saveexec_b64 s[48:49], vcc
	s_xor_b64 vcc, exec, s[48:49]
; %bb.152:                              ;   in Loop: Header=BB8_126 Depth=2
	v_bfe_u32 v4, v22, 16, 1
	v_add3_u32 v30, v22, v4, s71
                                        ; implicit-def: $vgpr22_vgpr23
; %bb.153:                              ;   in Loop: Header=BB8_126 Depth=2
	s_andn2_saveexec_b64 s[48:49], vcc
; %bb.154:                              ;   in Loop: Header=BB8_126 Depth=2
	v_or_b32_e32 v4, 0x10000, v22
	v_cmp_eq_u32_sdwa vcc, v22, v60 src0_sel:WORD_0 src1_sel:DWORD
	v_cndmask_b32_e32 v30, v4, v22, vcc
; %bb.155:                              ;   in Loop: Header=BB8_126 Depth=2
	s_or_b64 exec, exec, s[48:49]
	v_mov_b32_e32 v4, v21
	v_and_b32_e32 v6, 0xffff0000, v25
	v_and_b32_e32 v4, 0xffff0000, v4
	v_pk_add_f32 v[22:23], v[6:7], v[4:5] op_sel_hi:[0,1]
	v_and_b32_e32 v4, 0x7f800000, v22
	v_cmp_ne_u32_e32 vcc, s70, v4
                                        ; implicit-def: $vgpr25
	s_and_saveexec_b64 s[48:49], vcc
	s_xor_b64 vcc, exec, s[48:49]
; %bb.156:                              ;   in Loop: Header=BB8_126 Depth=2
	v_bfe_u32 v4, v22, 16, 1
	v_add3_u32 v25, v22, v4, s71
                                        ; implicit-def: $vgpr22_vgpr23
; %bb.157:                              ;   in Loop: Header=BB8_126 Depth=2
	s_andn2_saveexec_b64 s[48:49], vcc
; %bb.158:                              ;   in Loop: Header=BB8_126 Depth=2
	v_or_b32_e32 v4, 0x10000, v22
	v_cmp_eq_u32_sdwa vcc, v22, v60 src0_sel:WORD_0 src1_sel:DWORD
	v_cndmask_b32_e32 v25, v4, v22, vcc
; %bb.159:                              ;   in Loop: Header=BB8_126 Depth=2
	s_or_b64 exec, exec, s[48:49]
	v_lshlrev_b32_e32 v4, 16, v14
	v_lshlrev_b32_e32 v6, 16, v10
	v_pk_add_f32 v[22:23], v[4:5], v[6:7] op_sel_hi:[0,1]
	v_and_b32_e32 v4, 0x7f800000, v22
	v_cmp_ne_u32_e32 vcc, s70, v4
                                        ; implicit-def: $vgpr40
	s_and_saveexec_b64 s[48:49], vcc
	s_xor_b64 vcc, exec, s[48:49]
; %bb.160:                              ;   in Loop: Header=BB8_126 Depth=2
	v_bfe_u32 v4, v22, 16, 1
	v_add3_u32 v40, v22, v4, s71
                                        ; implicit-def: $vgpr22_vgpr23
; %bb.161:                              ;   in Loop: Header=BB8_126 Depth=2
	s_andn2_saveexec_b64 s[48:49], vcc
; %bb.162:                              ;   in Loop: Header=BB8_126 Depth=2
	v_or_b32_e32 v4, 0x10000, v22
	v_cmp_eq_u32_sdwa vcc, v22, v60 src0_sel:WORD_0 src1_sel:DWORD
	v_cndmask_b32_e32 v40, v4, v22, vcc
; %bb.163:                              ;   in Loop: Header=BB8_126 Depth=2
	s_or_b64 exec, exec, s[48:49]
	v_mov_b32_e32 v4, v10
	v_mov_b32_e32 v5, v14
	v_and_b32_e32 v6, 0xffff0000, v5
	v_and_b32_e32 v4, 0xffff0000, v4
	v_pk_add_f32 v[22:23], v[6:7], v[4:5] op_sel_hi:[0,1]
	v_and_b32_e32 v4, 0x7f800000, v22
	v_cmp_ne_u32_e32 vcc, s70, v4
                                        ; implicit-def: $vgpr41
	s_and_saveexec_b64 s[48:49], vcc
	s_xor_b64 vcc, exec, s[48:49]
; %bb.164:                              ;   in Loop: Header=BB8_126 Depth=2
	v_bfe_u32 v4, v22, 16, 1
	v_add3_u32 v41, v22, v4, s71
                                        ; implicit-def: $vgpr22_vgpr23
; %bb.165:                              ;   in Loop: Header=BB8_126 Depth=2
	s_andn2_saveexec_b64 s[48:49], vcc
; %bb.166:                              ;   in Loop: Header=BB8_126 Depth=2
	v_or_b32_e32 v4, 0x10000, v22
	v_cmp_eq_u32_sdwa vcc, v22, v60 src0_sel:WORD_0 src1_sel:DWORD
	v_cndmask_b32_e32 v41, v4, v22, vcc
; %bb.167:                              ;   in Loop: Header=BB8_126 Depth=2
	s_or_b64 exec, exec, s[48:49]
	v_lshlrev_b32_e32 v4, 16, v15
	v_lshlrev_b32_e32 v6, 16, v11
	v_pk_add_f32 v[22:23], v[4:5], v[6:7] op_sel_hi:[0,1]
	v_and_b32_e32 v4, 0x7f800000, v22
	v_cmp_ne_u32_e32 vcc, s70, v4
                                        ; implicit-def: $vgpr31
	s_and_saveexec_b64 s[48:49], vcc
	s_xor_b64 vcc, exec, s[48:49]
; %bb.168:                              ;   in Loop: Header=BB8_126 Depth=2
	v_bfe_u32 v4, v22, 16, 1
	v_add3_u32 v31, v22, v4, s71
                                        ; implicit-def: $vgpr22_vgpr23
; %bb.169:                              ;   in Loop: Header=BB8_126 Depth=2
	s_andn2_saveexec_b64 s[48:49], vcc
; %bb.170:                              ;   in Loop: Header=BB8_126 Depth=2
	v_or_b32_e32 v4, 0x10000, v22
	v_cmp_eq_u32_sdwa vcc, v22, v60 src0_sel:WORD_0 src1_sel:DWORD
	v_cndmask_b32_e32 v31, v4, v22, vcc
; %bb.171:                              ;   in Loop: Header=BB8_126 Depth=2
	s_or_b64 exec, exec, s[48:49]
	v_mov_b32_e32 v4, v11
	v_and_b32_e32 v6, 0xffff0000, v15
	v_and_b32_e32 v4, 0xffff0000, v4
	v_pk_add_f32 v[14:15], v[6:7], v[4:5] op_sel_hi:[0,1]
	v_and_b32_e32 v4, 0x7f800000, v14
	v_cmp_ne_u32_e32 vcc, s70, v4
                                        ; implicit-def: $vgpr4
	s_and_saveexec_b64 s[48:49], vcc
	s_xor_b64 vcc, exec, s[48:49]
; %bb.172:                              ;   in Loop: Header=BB8_126 Depth=2
	v_bfe_u32 v4, v14, 16, 1
	v_add3_u32 v4, v14, v4, s71
                                        ; implicit-def: $vgpr14_vgpr15
; %bb.173:                              ;   in Loop: Header=BB8_126 Depth=2
	s_andn2_saveexec_b64 s[48:49], vcc
; %bb.174:                              ;   in Loop: Header=BB8_126 Depth=2
	v_or_b32_e32 v4, 0x10000, v14
	v_cmp_eq_u32_sdwa vcc, v14, v60 src0_sel:WORD_0 src1_sel:DWORD
	v_cndmask_b32_e32 v4, v4, v14, vcc
; %bb.175:                              ;   in Loop: Header=BB8_126 Depth=2
	s_or_b64 exec, exec, s[48:49]
	v_lshlrev_b32_e32 v6, 16, v16
	v_lshlrev_b32_e32 v8, 16, v12
	v_pk_add_f32 v[14:15], v[6:7], v[8:9] op_sel_hi:[0,1]
	v_and_b32_e32 v5, 0x7f800000, v14
	v_cmp_ne_u32_e32 vcc, s70, v5
                                        ; implicit-def: $vgpr5
	s_and_saveexec_b64 s[48:49], vcc
	s_xor_b64 vcc, exec, s[48:49]
; %bb.176:                              ;   in Loop: Header=BB8_126 Depth=2
	v_bfe_u32 v5, v14, 16, 1
	v_add3_u32 v5, v14, v5, s71
                                        ; implicit-def: $vgpr14_vgpr15
; %bb.177:                              ;   in Loop: Header=BB8_126 Depth=2
	s_andn2_saveexec_b64 s[48:49], vcc
; %bb.178:                              ;   in Loop: Header=BB8_126 Depth=2
	v_or_b32_e32 v5, 0x10000, v14
	v_cmp_eq_u32_sdwa vcc, v14, v60 src0_sel:WORD_0 src1_sel:DWORD
	v_cndmask_b32_e32 v5, v5, v14, vcc
; %bb.179:                              ;   in Loop: Header=BB8_126 Depth=2
	s_or_b64 exec, exec, s[48:49]
	v_mov_b32_e32 v6, v12
	v_mov_b32_e32 v7, v16
	v_and_b32_e32 v8, 0xffff0000, v7
	v_and_b32_e32 v6, 0xffff0000, v6
	v_pk_add_f32 v[14:15], v[8:9], v[6:7] op_sel_hi:[0,1]
	v_and_b32_e32 v6, 0x7f800000, v14
	v_cmp_ne_u32_e32 vcc, s70, v6
                                        ; implicit-def: $vgpr16
	s_and_saveexec_b64 s[48:49], vcc
	s_xor_b64 vcc, exec, s[48:49]
; %bb.180:                              ;   in Loop: Header=BB8_126 Depth=2
	v_bfe_u32 v6, v14, 16, 1
	v_add3_u32 v16, v14, v6, s71
                                        ; implicit-def: $vgpr14_vgpr15
; %bb.181:                              ;   in Loop: Header=BB8_126 Depth=2
	s_andn2_saveexec_b64 s[48:49], vcc
; %bb.182:                              ;   in Loop: Header=BB8_126 Depth=2
	v_or_b32_e32 v6, 0x10000, v14
	v_cmp_eq_u32_sdwa vcc, v14, v60 src0_sel:WORD_0 src1_sel:DWORD
	v_cndmask_b32_e32 v16, v6, v14, vcc
; %bb.183:                              ;   in Loop: Header=BB8_126 Depth=2
	s_or_b64 exec, exec, s[48:49]
	v_lshlrev_b32_e32 v6, 16, v17
	v_lshlrev_b32_e32 v8, 16, v13
	v_pk_add_f32 v[14:15], v[6:7], v[8:9] op_sel_hi:[0,1]
	v_and_b32_e32 v6, 0x7f800000, v14
	v_cmp_ne_u32_e32 vcc, s70, v6
                                        ; implicit-def: $vgpr6
	s_and_saveexec_b64 s[48:49], vcc
	s_xor_b64 vcc, exec, s[48:49]
; %bb.184:                              ;   in Loop: Header=BB8_126 Depth=2
	v_bfe_u32 v6, v14, 16, 1
	v_add3_u32 v6, v14, v6, s71
                                        ; implicit-def: $vgpr14_vgpr15
; %bb.185:                              ;   in Loop: Header=BB8_126 Depth=2
	s_andn2_saveexec_b64 s[48:49], vcc
; %bb.186:                              ;   in Loop: Header=BB8_126 Depth=2
	v_or_b32_e32 v6, 0x10000, v14
	v_cmp_eq_u32_sdwa vcc, v14, v60 src0_sel:WORD_0 src1_sel:DWORD
	v_cndmask_b32_e32 v6, v6, v14, vcc
; %bb.187:                              ;   in Loop: Header=BB8_126 Depth=2
	s_or_b64 exec, exec, s[48:49]
	v_mov_b32_e32 v8, v13
	v_and_b32_e32 v14, 0xffff0000, v17
	v_and_b32_e32 v8, 0xffff0000, v8
	v_pk_add_f32 v[14:15], v[14:15], v[8:9] op_sel_hi:[0,1]
	v_and_b32_e32 v7, 0x7f800000, v14
	v_cmp_ne_u32_e32 vcc, s70, v7
                                        ; implicit-def: $vgpr7
	s_and_saveexec_b64 s[48:49], vcc
	s_xor_b64 vcc, exec, s[48:49]
; %bb.188:                              ;   in Loop: Header=BB8_126 Depth=2
	v_bfe_u32 v7, v14, 16, 1
	v_add3_u32 v7, v14, v7, s71
                                        ; implicit-def: $vgpr14_vgpr15
; %bb.189:                              ;   in Loop: Header=BB8_126 Depth=2
	s_andn2_saveexec_b64 s[48:49], vcc
; %bb.190:                              ;   in Loop: Header=BB8_126 Depth=2
	v_or_b32_e32 v7, 0x10000, v14
	v_cmp_eq_u32_sdwa vcc, v14, v60 src0_sel:WORD_0 src1_sel:DWORD
	v_cndmask_b32_e32 v7, v7, v14, vcc
; %bb.191:                              ;   in Loop: Header=BB8_126 Depth=2
	s_or_b64 exec, exec, s[48:49]
	v_lshrrev_b32_e32 v8, 16, v55
	v_and_or_b32 v23, v52, s72, v8
	v_lshrrev_b32_e32 v8, 16, v58
	v_and_or_b32 v22, v59, s72, v8
	;; [unrolled: 2-line block ×8, first 2 shown]
	v_accvgpr_read_b32 v4, a31
	global_store_dwordx4 v[0:1], v[22:25], off glc slc
	global_store_dwordx4 v[0:1], v[14:17], off offset:1024 glc slc
	v_add_co_u32_e32 v0, vcc, v0, v4
	v_accvgpr_read_b32 v4, a32
	v_addc_co_u32_e32 v1, vcc, v1, v4, vcc
.LBB8_192:                              ;   in Loop: Header=BB8_126 Depth=2
	s_or_b64 exec, exec, s[50:51]
	v_accvgpr_read_b32 v4, a31
	v_add_co_u32_e32 v52, vcc, v2, v4
	v_accvgpr_read_b32 v2, a32
	v_addc_co_u32_e32 v53, vcc, v3, v2, vcc
	v_add_co_u32_e32 v44, vcc, v44, v4
	v_addc_co_u32_e32 v45, vcc, v45, v2, vcc
	v_accvgpr_read_b32 v2, a26
	v_sub_u32_e32 v61, v61, v2
	v_cmp_lt_i32_e64 s[48:49], 0, v61
	s_and_saveexec_b64 s[50:51], s[48:49]
	s_cbranch_execz .LBB8_194
; %bb.193:                              ;   in Loop: Header=BB8_126 Depth=2
	global_load_dwordx4 v[22:25], v[52:53], off glc slc
	global_load_dwordx4 v[14:17], v[52:53], off offset:1024 glc slc
	global_load_dwordx4 v[18:21], v[44:45], off glc slc
	global_load_dwordx4 v[10:13], v[44:45], off offset:1024 glc slc
	v_add_co_u32_e32 v52, vcc, s66, v52
	v_addc_co_u32_e32 v53, vcc, 0, v53, vcc
	v_add_co_u32_e32 v44, vcc, 0x800, v44
	v_addc_co_u32_e32 v45, vcc, 0, v45, vcc
.LBB8_194:                              ;   in Loop: Header=BB8_126 Depth=2
	s_or_b64 exec, exec, s[50:51]
	s_waitcnt vmcnt(0)
	v_lshlrev_b32_e32 v2, 16, v36
	v_lshlrev_b32_e32 v4, 16, v48
	v_pk_add_f32 v[2:3], v[2:3], v[4:5] op_sel_hi:[0,1]
	v_and_b32_e32 v3, 0x7f800000, v2
	v_cmp_ne_u32_e32 vcc, s70, v3
                                        ; implicit-def: $vgpr58
	s_and_saveexec_b64 s[50:51], vcc
	s_xor_b64 vcc, exec, s[50:51]
; %bb.195:                              ;   in Loop: Header=BB8_126 Depth=2
	v_bfe_u32 v3, v2, 16, 1
	v_add3_u32 v58, v2, v3, s71
                                        ; implicit-def: $vgpr2_vgpr3
; %bb.196:                              ;   in Loop: Header=BB8_126 Depth=2
	s_andn2_saveexec_b64 s[50:51], vcc
; %bb.197:                              ;   in Loop: Header=BB8_126 Depth=2
	v_or_b32_e32 v3, 0x10000, v2
	v_cmp_eq_u32_sdwa vcc, v2, v60 src0_sel:WORD_0 src1_sel:DWORD
	v_cndmask_b32_e32 v58, v3, v2, vcc
; %bb.198:                              ;   in Loop: Header=BB8_126 Depth=2
	s_or_b64 exec, exec, s[50:51]
	v_and_b32_e32 v2, 0xffff0000, v36
	v_and_b32_e32 v4, 0xffff0000, v48
	v_pk_add_f32 v[2:3], v[2:3], v[4:5] op_sel_hi:[0,1]
	v_and_b32_e32 v3, 0x7f800000, v2
	v_cmp_ne_u32_e32 vcc, s70, v3
                                        ; implicit-def: $vgpr48
	s_and_saveexec_b64 s[50:51], vcc
	s_xor_b64 vcc, exec, s[50:51]
; %bb.199:                              ;   in Loop: Header=BB8_126 Depth=2
	v_bfe_u32 v3, v2, 16, 1
	v_add3_u32 v48, v2, v3, s71
                                        ; implicit-def: $vgpr2_vgpr3
; %bb.200:                              ;   in Loop: Header=BB8_126 Depth=2
	s_andn2_saveexec_b64 s[50:51], vcc
; %bb.201:                              ;   in Loop: Header=BB8_126 Depth=2
	v_or_b32_e32 v3, 0x10000, v2
	v_cmp_eq_u32_sdwa vcc, v2, v60 src0_sel:WORD_0 src1_sel:DWORD
	v_cndmask_b32_e32 v48, v3, v2, vcc
; %bb.202:                              ;   in Loop: Header=BB8_126 Depth=2
	s_or_b64 exec, exec, s[50:51]
	v_mov_b32_e32 v3, v37
	v_lshlrev_b32_e32 v2, 16, v3
	v_lshlrev_b32_e32 v4, 16, v49
	v_pk_add_f32 v[36:37], v[2:3], v[4:5] op_sel_hi:[0,1]
	v_and_b32_e32 v2, 0x7f800000, v36
	v_cmp_ne_u32_e32 vcc, s70, v2
                                        ; implicit-def: $vgpr55
	s_and_saveexec_b64 s[50:51], vcc
	s_xor_b64 vcc, exec, s[50:51]
; %bb.203:                              ;   in Loop: Header=BB8_126 Depth=2
	v_bfe_u32 v2, v36, 16, 1
	v_add3_u32 v55, v36, v2, s71
                                        ; implicit-def: $vgpr36_vgpr37
; %bb.204:                              ;   in Loop: Header=BB8_126 Depth=2
	s_andn2_saveexec_b64 s[50:51], vcc
; %bb.205:                              ;   in Loop: Header=BB8_126 Depth=2
	v_or_b32_e32 v2, 0x10000, v36
	v_cmp_eq_u32_sdwa vcc, v36, v60 src0_sel:WORD_0 src1_sel:DWORD
	v_cndmask_b32_e32 v55, v2, v36, vcc
; %bb.206:                              ;   in Loop: Header=BB8_126 Depth=2
	s_or_b64 exec, exec, s[50:51]
	v_and_b32_e32 v2, 0xffff0000, v3
	v_and_b32_e32 v4, 0xffff0000, v49
	v_pk_add_f32 v[2:3], v[2:3], v[4:5] op_sel_hi:[0,1]
	v_and_b32_e32 v3, 0x7f800000, v2
	v_cmp_ne_u32_e32 vcc, s70, v3
                                        ; implicit-def: $vgpr49
	s_and_saveexec_b64 s[50:51], vcc
	s_xor_b64 vcc, exec, s[50:51]
; %bb.207:                              ;   in Loop: Header=BB8_126 Depth=2
	v_bfe_u32 v3, v2, 16, 1
	v_add3_u32 v49, v2, v3, s71
                                        ; implicit-def: $vgpr2_vgpr3
; %bb.208:                              ;   in Loop: Header=BB8_126 Depth=2
	s_andn2_saveexec_b64 s[50:51], vcc
; %bb.209:                              ;   in Loop: Header=BB8_126 Depth=2
	v_or_b32_e32 v3, 0x10000, v2
	v_cmp_eq_u32_sdwa vcc, v2, v60 src0_sel:WORD_0 src1_sel:DWORD
	v_cndmask_b32_e32 v49, v3, v2, vcc
; %bb.210:                              ;   in Loop: Header=BB8_126 Depth=2
	s_or_b64 exec, exec, s[50:51]
	v_lshlrev_b32_e32 v2, 16, v38
	v_lshlrev_b32_e32 v4, 16, v50
	v_pk_add_f32 v[2:3], v[2:3], v[4:5] op_sel_hi:[0,1]
	v_and_b32_e32 v3, 0x7f800000, v2
	v_cmp_ne_u32_e32 vcc, s70, v3
                                        ; implicit-def: $vgpr59
	s_and_saveexec_b64 s[50:51], vcc
	s_xor_b64 vcc, exec, s[50:51]
; %bb.211:                              ;   in Loop: Header=BB8_126 Depth=2
	v_bfe_u32 v3, v2, 16, 1
	v_add3_u32 v59, v2, v3, s71
                                        ; implicit-def: $vgpr2_vgpr3
; %bb.212:                              ;   in Loop: Header=BB8_126 Depth=2
	s_andn2_saveexec_b64 s[50:51], vcc
; %bb.213:                              ;   in Loop: Header=BB8_126 Depth=2
	v_or_b32_e32 v3, 0x10000, v2
	v_cmp_eq_u32_sdwa vcc, v2, v60 src0_sel:WORD_0 src1_sel:DWORD
	v_cndmask_b32_e32 v59, v3, v2, vcc
; %bb.214:                              ;   in Loop: Header=BB8_126 Depth=2
	s_or_b64 exec, exec, s[50:51]
	v_and_b32_e32 v2, 0xffff0000, v38
	v_and_b32_e32 v4, 0xffff0000, v50
	v_pk_add_f32 v[2:3], v[2:3], v[4:5] op_sel_hi:[0,1]
	v_and_b32_e32 v3, 0x7f800000, v2
	v_cmp_ne_u32_e32 vcc, s70, v3
                                        ; implicit-def: $vgpr38
	s_and_saveexec_b64 s[50:51], vcc
	s_xor_b64 vcc, exec, s[50:51]
; %bb.215:                              ;   in Loop: Header=BB8_126 Depth=2
	v_bfe_u32 v3, v2, 16, 1
	v_add3_u32 v38, v2, v3, s71
                                        ; implicit-def: $vgpr2_vgpr3
; %bb.216:                              ;   in Loop: Header=BB8_126 Depth=2
	s_andn2_saveexec_b64 s[50:51], vcc
; %bb.217:                              ;   in Loop: Header=BB8_126 Depth=2
	v_or_b32_e32 v3, 0x10000, v2
	v_cmp_eq_u32_sdwa vcc, v2, v60 src0_sel:WORD_0 src1_sel:DWORD
	v_cndmask_b32_e32 v38, v3, v2, vcc
; %bb.218:                              ;   in Loop: Header=BB8_126 Depth=2
	s_or_b64 exec, exec, s[50:51]
	v_mov_b32_e32 v3, v51
	v_lshlrev_b32_e32 v2, 16, v39
	v_lshlrev_b32_e32 v4, 16, v3
	v_pk_add_f32 v[36:37], v[2:3], v[4:5] op_sel_hi:[0,1]
	v_and_b32_e32 v2, 0x7f800000, v36
	v_cmp_ne_u32_e32 vcc, s70, v2
                                        ; implicit-def: $vgpr30
	s_and_saveexec_b64 s[50:51], vcc
	s_xor_b64 vcc, exec, s[50:51]
; %bb.219:                              ;   in Loop: Header=BB8_126 Depth=2
	v_bfe_u32 v2, v36, 16, 1
	v_add3_u32 v30, v36, v2, s71
                                        ; implicit-def: $vgpr36_vgpr37
; %bb.220:                              ;   in Loop: Header=BB8_126 Depth=2
	s_andn2_saveexec_b64 s[50:51], vcc
; %bb.221:                              ;   in Loop: Header=BB8_126 Depth=2
	v_or_b32_e32 v2, 0x10000, v36
	v_cmp_eq_u32_sdwa vcc, v36, v60 src0_sel:WORD_0 src1_sel:DWORD
	v_cndmask_b32_e32 v30, v2, v36, vcc
; %bb.222:                              ;   in Loop: Header=BB8_126 Depth=2
	s_or_b64 exec, exec, s[50:51]
	v_and_b32_e32 v2, 0xffff0000, v39
	v_and_b32_e32 v4, 0xffff0000, v3
	v_pk_add_f32 v[2:3], v[2:3], v[4:5] op_sel_hi:[0,1]
	v_and_b32_e32 v3, 0x7f800000, v2
	v_cmp_ne_u32_e32 vcc, s70, v3
                                        ; implicit-def: $vgpr36
	s_and_saveexec_b64 s[50:51], vcc
	s_xor_b64 vcc, exec, s[50:51]
; %bb.223:                              ;   in Loop: Header=BB8_126 Depth=2
	v_bfe_u32 v3, v2, 16, 1
	v_add3_u32 v36, v2, v3, s71
                                        ; implicit-def: $vgpr2_vgpr3
; %bb.224:                              ;   in Loop: Header=BB8_126 Depth=2
	s_andn2_saveexec_b64 s[50:51], vcc
; %bb.225:                              ;   in Loop: Header=BB8_126 Depth=2
	v_or_b32_e32 v3, 0x10000, v2
	v_cmp_eq_u32_sdwa vcc, v2, v60 src0_sel:WORD_0 src1_sel:DWORD
	v_cndmask_b32_e32 v36, v3, v2, vcc
; %bb.226:                              ;   in Loop: Header=BB8_126 Depth=2
	s_or_b64 exec, exec, s[50:51]
	v_lshlrev_b32_e32 v2, 16, v26
	v_lshlrev_b32_e32 v4, 16, v32
	v_pk_add_f32 v[2:3], v[2:3], v[4:5] op_sel_hi:[0,1]
	v_and_b32_e32 v3, 0x7f800000, v2
	v_cmp_ne_u32_e32 vcc, s70, v3
                                        ; implicit-def: $vgpr37
	s_and_saveexec_b64 s[50:51], vcc
	s_xor_b64 vcc, exec, s[50:51]
; %bb.227:                              ;   in Loop: Header=BB8_126 Depth=2
	v_bfe_u32 v3, v2, 16, 1
	v_add3_u32 v37, v2, v3, s71
                                        ; implicit-def: $vgpr2_vgpr3
; %bb.228:                              ;   in Loop: Header=BB8_126 Depth=2
	s_andn2_saveexec_b64 s[50:51], vcc
; %bb.229:                              ;   in Loop: Header=BB8_126 Depth=2
	v_or_b32_e32 v3, 0x10000, v2
	v_cmp_eq_u32_sdwa vcc, v2, v60 src0_sel:WORD_0 src1_sel:DWORD
	v_cndmask_b32_e32 v37, v3, v2, vcc
; %bb.230:                              ;   in Loop: Header=BB8_126 Depth=2
	s_or_b64 exec, exec, s[50:51]
	v_and_b32_e32 v2, 0xffff0000, v26
	v_and_b32_e32 v4, 0xffff0000, v32
	v_pk_add_f32 v[2:3], v[2:3], v[4:5] op_sel_hi:[0,1]
	v_and_b32_e32 v3, 0x7f800000, v2
	v_cmp_ne_u32_e32 vcc, s70, v3
                                        ; implicit-def: $vgpr32
	s_and_saveexec_b64 s[50:51], vcc
	s_xor_b64 vcc, exec, s[50:51]
; %bb.231:                              ;   in Loop: Header=BB8_126 Depth=2
	v_bfe_u32 v3, v2, 16, 1
	v_add3_u32 v32, v2, v3, s71
                                        ; implicit-def: $vgpr2_vgpr3
; %bb.232:                              ;   in Loop: Header=BB8_126 Depth=2
	s_andn2_saveexec_b64 s[50:51], vcc
; %bb.233:                              ;   in Loop: Header=BB8_126 Depth=2
	v_or_b32_e32 v3, 0x10000, v2
	v_cmp_eq_u32_sdwa vcc, v2, v60 src0_sel:WORD_0 src1_sel:DWORD
	v_cndmask_b32_e32 v32, v3, v2, vcc
; %bb.234:                              ;   in Loop: Header=BB8_126 Depth=2
	s_or_b64 exec, exec, s[50:51]
	v_mov_b32_e32 v3, v27
	v_lshlrev_b32_e32 v2, 16, v3
	v_lshlrev_b32_e32 v4, 16, v33
	v_pk_add_f32 v[26:27], v[2:3], v[4:5] op_sel_hi:[0,1]
	v_and_b32_e32 v2, 0x7f800000, v26
	v_cmp_ne_u32_e32 vcc, s70, v2
                                        ; implicit-def: $vgpr31
	s_and_saveexec_b64 s[50:51], vcc
	s_xor_b64 vcc, exec, s[50:51]
; %bb.235:                              ;   in Loop: Header=BB8_126 Depth=2
	v_bfe_u32 v2, v26, 16, 1
	v_add3_u32 v31, v26, v2, s71
                                        ; implicit-def: $vgpr26_vgpr27
; %bb.236:                              ;   in Loop: Header=BB8_126 Depth=2
	s_andn2_saveexec_b64 s[50:51], vcc
; %bb.237:                              ;   in Loop: Header=BB8_126 Depth=2
	v_or_b32_e32 v2, 0x10000, v26
	v_cmp_eq_u32_sdwa vcc, v26, v60 src0_sel:WORD_0 src1_sel:DWORD
	v_cndmask_b32_e32 v31, v2, v26, vcc
; %bb.238:                              ;   in Loop: Header=BB8_126 Depth=2
	s_or_b64 exec, exec, s[50:51]
	v_and_b32_e32 v2, 0xffff0000, v3
	v_and_b32_e32 v4, 0xffff0000, v33
	v_pk_add_f32 v[2:3], v[2:3], v[4:5] op_sel_hi:[0,1]
	v_and_b32_e32 v3, 0x7f800000, v2
	v_cmp_ne_u32_e32 vcc, s70, v3
                                        ; implicit-def: $vgpr4
	s_and_saveexec_b64 s[50:51], vcc
	s_xor_b64 vcc, exec, s[50:51]
; %bb.239:                              ;   in Loop: Header=BB8_126 Depth=2
	v_bfe_u32 v3, v2, 16, 1
	v_add3_u32 v4, v2, v3, s71
                                        ; implicit-def: $vgpr2_vgpr3
; %bb.240:                              ;   in Loop: Header=BB8_126 Depth=2
	s_andn2_saveexec_b64 s[50:51], vcc
; %bb.241:                              ;   in Loop: Header=BB8_126 Depth=2
	v_or_b32_e32 v3, 0x10000, v2
	v_cmp_eq_u32_sdwa vcc, v2, v60 src0_sel:WORD_0 src1_sel:DWORD
	v_cndmask_b32_e32 v4, v3, v2, vcc
; %bb.242:                              ;   in Loop: Header=BB8_126 Depth=2
	s_or_b64 exec, exec, s[50:51]
	v_lshlrev_b32_e32 v2, 16, v28
	v_lshlrev_b32_e32 v6, 16, v34
	v_pk_add_f32 v[2:3], v[2:3], v[6:7] op_sel_hi:[0,1]
	v_and_b32_e32 v3, 0x7f800000, v2
	v_cmp_ne_u32_e32 vcc, s70, v3
                                        ; implicit-def: $vgpr5
	s_and_saveexec_b64 s[50:51], vcc
	s_xor_b64 vcc, exec, s[50:51]
; %bb.243:                              ;   in Loop: Header=BB8_126 Depth=2
	v_bfe_u32 v3, v2, 16, 1
	v_add3_u32 v5, v2, v3, s71
                                        ; implicit-def: $vgpr2_vgpr3
; %bb.244:                              ;   in Loop: Header=BB8_126 Depth=2
	s_andn2_saveexec_b64 s[50:51], vcc
; %bb.245:                              ;   in Loop: Header=BB8_126 Depth=2
	v_or_b32_e32 v3, 0x10000, v2
	v_cmp_eq_u32_sdwa vcc, v2, v60 src0_sel:WORD_0 src1_sel:DWORD
	v_cndmask_b32_e32 v5, v3, v2, vcc
; %bb.246:                              ;   in Loop: Header=BB8_126 Depth=2
	s_or_b64 exec, exec, s[50:51]
	v_and_b32_e32 v2, 0xffff0000, v28
	v_and_b32_e32 v6, 0xffff0000, v34
	v_pk_add_f32 v[2:3], v[2:3], v[6:7] op_sel_hi:[0,1]
	v_and_b32_e32 v3, 0x7f800000, v2
	v_cmp_ne_u32_e32 vcc, s70, v3
                                        ; implicit-def: $vgpr28
	s_and_saveexec_b64 s[50:51], vcc
	s_xor_b64 vcc, exec, s[50:51]
; %bb.247:                              ;   in Loop: Header=BB8_126 Depth=2
	v_bfe_u32 v3, v2, 16, 1
	v_add3_u32 v28, v2, v3, s71
                                        ; implicit-def: $vgpr2_vgpr3
; %bb.248:                              ;   in Loop: Header=BB8_126 Depth=2
	s_andn2_saveexec_b64 s[50:51], vcc
; %bb.249:                              ;   in Loop: Header=BB8_126 Depth=2
	v_or_b32_e32 v3, 0x10000, v2
	v_cmp_eq_u32_sdwa vcc, v2, v60 src0_sel:WORD_0 src1_sel:DWORD
	v_cndmask_b32_e32 v28, v3, v2, vcc
; %bb.250:                              ;   in Loop: Header=BB8_126 Depth=2
	s_or_b64 exec, exec, s[50:51]
	v_mov_b32_e32 v3, v35
	v_lshlrev_b32_e32 v2, 16, v29
	v_lshlrev_b32_e32 v6, 16, v3
	v_pk_add_f32 v[26:27], v[2:3], v[6:7] op_sel_hi:[0,1]
	v_and_b32_e32 v2, 0x7f800000, v26
	v_cmp_ne_u32_e32 vcc, s70, v2
                                        ; implicit-def: $vgpr6
	s_and_saveexec_b64 s[50:51], vcc
	s_xor_b64 vcc, exec, s[50:51]
; %bb.251:                              ;   in Loop: Header=BB8_126 Depth=2
	v_bfe_u32 v2, v26, 16, 1
	v_add3_u32 v6, v26, v2, s71
                                        ; implicit-def: $vgpr26_vgpr27
; %bb.252:                              ;   in Loop: Header=BB8_126 Depth=2
	s_andn2_saveexec_b64 s[50:51], vcc
; %bb.253:                              ;   in Loop: Header=BB8_126 Depth=2
	v_or_b32_e32 v2, 0x10000, v26
	v_cmp_eq_u32_sdwa vcc, v26, v60 src0_sel:WORD_0 src1_sel:DWORD
	v_cndmask_b32_e32 v6, v2, v26, vcc
; %bb.254:                              ;   in Loop: Header=BB8_126 Depth=2
	s_or_b64 exec, exec, s[50:51]
	v_and_b32_e32 v2, 0xffff0000, v29
	v_and_b32_e32 v8, 0xffff0000, v3
	v_pk_add_f32 v[2:3], v[2:3], v[8:9] op_sel_hi:[0,1]
	v_and_b32_e32 v3, 0x7f800000, v2
	v_cmp_ne_u32_e32 vcc, s70, v3
                                        ; implicit-def: $vgpr7
	s_and_saveexec_b64 s[50:51], vcc
	s_xor_b64 vcc, exec, s[50:51]
; %bb.255:                              ;   in Loop: Header=BB8_126 Depth=2
	v_bfe_u32 v3, v2, 16, 1
	v_add3_u32 v7, v2, v3, s71
                                        ; implicit-def: $vgpr2_vgpr3
; %bb.256:                              ;   in Loop: Header=BB8_126 Depth=2
	s_andn2_saveexec_b64 s[50:51], vcc
	s_cbranch_execz .LBB8_125
; %bb.257:                              ;   in Loop: Header=BB8_126 Depth=2
	v_or_b32_e32 v3, 0x10000, v2
	v_cmp_eq_u32_sdwa vcc, v2, v60 src0_sel:WORD_0 src1_sel:DWORD
	v_cndmask_b32_e32 v7, v3, v2, vcc
	s_branch .LBB8_125
.LBB8_258:                              ;   in Loop: Header=BB8_49 Depth=1
	s_or_b64 exec, exec, s[24:25]
	v_accvgpr_read_b32 v35, a23
	s_and_b64 s[24:25], s[26:27], exec
	v_accvgpr_read_b32 v34, a22
	v_mov_b32_e32 v37, v9
	v_accvgpr_read_b32 v31, a3
	v_accvgpr_read_b32 v38, a17
	;; [unrolled: 1-line block ×17, first 2 shown]
.LBB8_259:                              ;   in Loop: Header=BB8_49 Depth=1
	s_or_b64 exec, exec, s[22:23]
	s_and_saveexec_b64 s[22:23], s[24:25]
	s_cbranch_execz .LBB8_325
; %bb.260:                              ;   in Loop: Header=BB8_49 Depth=1
	v_lshlrev_b32_e32 v2, 16, v22
	v_lshlrev_b32_e32 v4, 16, v18
	v_pk_add_f32 v[2:3], v[2:3], v[4:5] op_sel_hi:[0,1]
	v_and_b32_e32 v3, 0x7f800000, v2
	v_cmp_ne_u32_e32 vcc, s70, v3
                                        ; implicit-def: $vgpr26
	s_and_saveexec_b64 s[24:25], vcc
	s_xor_b64 s[24:25], exec, s[24:25]
; %bb.261:                              ;   in Loop: Header=BB8_49 Depth=1
	v_bfe_u32 v3, v2, 16, 1
	v_add3_u32 v26, v2, v3, s71
                                        ; implicit-def: $vgpr2_vgpr3
; %bb.262:                              ;   in Loop: Header=BB8_49 Depth=1
	s_andn2_saveexec_b64 s[24:25], s[24:25]
; %bb.263:                              ;   in Loop: Header=BB8_49 Depth=1
	v_or_b32_e32 v3, 0x10000, v2
	v_cmp_eq_u32_sdwa vcc, v2, v60 src0_sel:WORD_0 src1_sel:DWORD
	v_cndmask_b32_e32 v26, v3, v2, vcc
; %bb.264:                              ;   in Loop: Header=BB8_49 Depth=1
	s_or_b64 exec, exec, s[24:25]
	v_mov_b32_e32 v2, v18
	v_mov_b32_e32 v3, v22
	v_and_b32_e32 v4, 0xffff0000, v3
	v_and_b32_e32 v2, 0xffff0000, v2
	v_pk_add_f32 v[2:3], v[4:5], v[2:3] op_sel_hi:[0,1]
	v_and_b32_e32 v3, 0x7f800000, v2
	v_cmp_ne_u32_e32 vcc, s70, v3
                                        ; implicit-def: $vgpr18
	s_and_saveexec_b64 s[24:25], vcc
	s_xor_b64 s[24:25], exec, s[24:25]
; %bb.265:                              ;   in Loop: Header=BB8_49 Depth=1
	v_bfe_u32 v3, v2, 16, 1
	v_add3_u32 v18, v2, v3, s71
                                        ; implicit-def: $vgpr2_vgpr3
; %bb.266:                              ;   in Loop: Header=BB8_49 Depth=1
	s_andn2_saveexec_b64 s[24:25], s[24:25]
; %bb.267:                              ;   in Loop: Header=BB8_49 Depth=1
	v_or_b32_e32 v3, 0x10000, v2
	v_cmp_eq_u32_sdwa vcc, v2, v60 src0_sel:WORD_0 src1_sel:DWORD
	v_cndmask_b32_e32 v18, v3, v2, vcc
; %bb.268:                              ;   in Loop: Header=BB8_49 Depth=1
	s_or_b64 exec, exec, s[24:25]
	v_lshlrev_b32_e32 v2, 16, v23
	v_lshlrev_b32_e32 v4, 16, v19
	v_pk_add_f32 v[2:3], v[2:3], v[4:5] op_sel_hi:[0,1]
	v_and_b32_e32 v3, 0x7f800000, v2
	v_cmp_ne_u32_e32 vcc, s70, v3
                                        ; implicit-def: $vgpr22
	s_and_saveexec_b64 s[24:25], vcc
	s_xor_b64 s[24:25], exec, s[24:25]
; %bb.269:                              ;   in Loop: Header=BB8_49 Depth=1
	v_bfe_u32 v3, v2, 16, 1
	v_add3_u32 v22, v2, v3, s71
                                        ; implicit-def: $vgpr2_vgpr3
; %bb.270:                              ;   in Loop: Header=BB8_49 Depth=1
	s_andn2_saveexec_b64 s[24:25], s[24:25]
; %bb.271:                              ;   in Loop: Header=BB8_49 Depth=1
	v_or_b32_e32 v3, 0x10000, v2
	v_cmp_eq_u32_sdwa vcc, v2, v60 src0_sel:WORD_0 src1_sel:DWORD
	v_cndmask_b32_e32 v22, v3, v2, vcc
; %bb.272:                              ;   in Loop: Header=BB8_49 Depth=1
	s_or_b64 exec, exec, s[24:25]
	v_mov_b32_e32 v2, v19
	v_and_b32_e32 v4, 0xffff0000, v23
	v_and_b32_e32 v2, 0xffff0000, v2
	v_pk_add_f32 v[2:3], v[4:5], v[2:3] op_sel_hi:[0,1]
	v_and_b32_e32 v3, 0x7f800000, v2
	v_cmp_ne_u32_e32 vcc, s70, v3
                                        ; implicit-def: $vgpr19
	s_and_saveexec_b64 s[24:25], vcc
	s_xor_b64 s[24:25], exec, s[24:25]
; %bb.273:                              ;   in Loop: Header=BB8_49 Depth=1
	v_bfe_u32 v3, v2, 16, 1
	v_add3_u32 v19, v2, v3, s71
                                        ; implicit-def: $vgpr2_vgpr3
; %bb.274:                              ;   in Loop: Header=BB8_49 Depth=1
	s_andn2_saveexec_b64 s[24:25], s[24:25]
; %bb.275:                              ;   in Loop: Header=BB8_49 Depth=1
	v_or_b32_e32 v3, 0x10000, v2
	v_cmp_eq_u32_sdwa vcc, v2, v60 src0_sel:WORD_0 src1_sel:DWORD
	v_cndmask_b32_e32 v19, v3, v2, vcc
; %bb.276:                              ;   in Loop: Header=BB8_49 Depth=1
	s_or_b64 exec, exec, s[24:25]
	v_lshlrev_b32_e32 v2, 16, v24
	v_lshlrev_b32_e32 v4, 16, v20
	v_pk_add_f32 v[2:3], v[2:3], v[4:5] op_sel_hi:[0,1]
	v_and_b32_e32 v3, 0x7f800000, v2
	v_cmp_ne_u32_e32 vcc, s70, v3
                                        ; implicit-def: $vgpr23
	s_and_saveexec_b64 s[24:25], vcc
	s_xor_b64 s[24:25], exec, s[24:25]
; %bb.277:                              ;   in Loop: Header=BB8_49 Depth=1
	v_bfe_u32 v3, v2, 16, 1
	v_add3_u32 v23, v2, v3, s71
                                        ; implicit-def: $vgpr2_vgpr3
; %bb.278:                              ;   in Loop: Header=BB8_49 Depth=1
	s_andn2_saveexec_b64 s[24:25], s[24:25]
; %bb.279:                              ;   in Loop: Header=BB8_49 Depth=1
	v_or_b32_e32 v3, 0x10000, v2
	v_cmp_eq_u32_sdwa vcc, v2, v60 src0_sel:WORD_0 src1_sel:DWORD
	v_cndmask_b32_e32 v23, v3, v2, vcc
; %bb.280:                              ;   in Loop: Header=BB8_49 Depth=1
	s_or_b64 exec, exec, s[24:25]
	v_mov_b32_e32 v2, v20
	v_mov_b32_e32 v3, v24
	v_and_b32_e32 v4, 0xffff0000, v3
	v_and_b32_e32 v2, 0xffff0000, v2
	v_pk_add_f32 v[2:3], v[4:5], v[2:3] op_sel_hi:[0,1]
	v_and_b32_e32 v3, 0x7f800000, v2
	v_cmp_ne_u32_e32 vcc, s70, v3
                                        ; implicit-def: $vgpr20
	s_and_saveexec_b64 s[24:25], vcc
	s_xor_b64 s[24:25], exec, s[24:25]
; %bb.281:                              ;   in Loop: Header=BB8_49 Depth=1
	v_bfe_u32 v3, v2, 16, 1
	v_add3_u32 v20, v2, v3, s71
                                        ; implicit-def: $vgpr2_vgpr3
; %bb.282:                              ;   in Loop: Header=BB8_49 Depth=1
	s_andn2_saveexec_b64 s[24:25], s[24:25]
; %bb.283:                              ;   in Loop: Header=BB8_49 Depth=1
	v_or_b32_e32 v3, 0x10000, v2
	v_cmp_eq_u32_sdwa vcc, v2, v60 src0_sel:WORD_0 src1_sel:DWORD
	v_cndmask_b32_e32 v20, v3, v2, vcc
; %bb.284:                              ;   in Loop: Header=BB8_49 Depth=1
	s_or_b64 exec, exec, s[24:25]
	v_lshlrev_b32_e32 v2, 16, v25
	v_lshlrev_b32_e32 v4, 16, v21
	v_pk_add_f32 v[2:3], v[2:3], v[4:5] op_sel_hi:[0,1]
	v_and_b32_e32 v3, 0x7f800000, v2
	v_cmp_ne_u32_e32 vcc, s70, v3
                                        ; implicit-def: $vgpr24
	s_and_saveexec_b64 s[24:25], vcc
	s_xor_b64 s[24:25], exec, s[24:25]
; %bb.285:                              ;   in Loop: Header=BB8_49 Depth=1
	v_bfe_u32 v3, v2, 16, 1
	v_add3_u32 v24, v2, v3, s71
                                        ; implicit-def: $vgpr2_vgpr3
; %bb.286:                              ;   in Loop: Header=BB8_49 Depth=1
	s_andn2_saveexec_b64 s[24:25], s[24:25]
; %bb.287:                              ;   in Loop: Header=BB8_49 Depth=1
	v_or_b32_e32 v3, 0x10000, v2
	v_cmp_eq_u32_sdwa vcc, v2, v60 src0_sel:WORD_0 src1_sel:DWORD
	v_cndmask_b32_e32 v24, v3, v2, vcc
; %bb.288:                              ;   in Loop: Header=BB8_49 Depth=1
	s_or_b64 exec, exec, s[24:25]
	v_mov_b32_e32 v2, v21
	v_and_b32_e32 v4, 0xffff0000, v25
	v_and_b32_e32 v2, 0xffff0000, v2
	v_pk_add_f32 v[2:3], v[4:5], v[2:3] op_sel_hi:[0,1]
	v_and_b32_e32 v3, 0x7f800000, v2
	v_cmp_ne_u32_e32 vcc, s70, v3
                                        ; implicit-def: $vgpr21
	s_and_saveexec_b64 s[24:25], vcc
	s_xor_b64 s[24:25], exec, s[24:25]
; %bb.289:                              ;   in Loop: Header=BB8_49 Depth=1
	v_bfe_u32 v3, v2, 16, 1
	v_add3_u32 v21, v2, v3, s71
                                        ; implicit-def: $vgpr2_vgpr3
; %bb.290:                              ;   in Loop: Header=BB8_49 Depth=1
	s_andn2_saveexec_b64 s[24:25], s[24:25]
; %bb.291:                              ;   in Loop: Header=BB8_49 Depth=1
	v_or_b32_e32 v3, 0x10000, v2
	v_cmp_eq_u32_sdwa vcc, v2, v60 src0_sel:WORD_0 src1_sel:DWORD
	v_cndmask_b32_e32 v21, v3, v2, vcc
; %bb.292:                              ;   in Loop: Header=BB8_49 Depth=1
	s_or_b64 exec, exec, s[24:25]
	v_lshlrev_b32_e32 v2, 16, v14
	v_lshlrev_b32_e32 v4, 16, v10
	v_pk_add_f32 v[2:3], v[2:3], v[4:5] op_sel_hi:[0,1]
	v_and_b32_e32 v3, 0x7f800000, v2
	v_cmp_ne_u32_e32 vcc, s70, v3
                                        ; implicit-def: $vgpr25
	s_and_saveexec_b64 s[24:25], vcc
	s_xor_b64 s[24:25], exec, s[24:25]
; %bb.293:                              ;   in Loop: Header=BB8_49 Depth=1
	v_bfe_u32 v3, v2, 16, 1
	v_add3_u32 v25, v2, v3, s71
                                        ; implicit-def: $vgpr2_vgpr3
; %bb.294:                              ;   in Loop: Header=BB8_49 Depth=1
	s_andn2_saveexec_b64 s[24:25], s[24:25]
; %bb.295:                              ;   in Loop: Header=BB8_49 Depth=1
	v_or_b32_e32 v3, 0x10000, v2
	v_cmp_eq_u32_sdwa vcc, v2, v60 src0_sel:WORD_0 src1_sel:DWORD
	v_cndmask_b32_e32 v25, v3, v2, vcc
; %bb.296:                              ;   in Loop: Header=BB8_49 Depth=1
	s_or_b64 exec, exec, s[24:25]
	v_mov_b32_e32 v2, v10
	v_mov_b32_e32 v3, v14
	v_and_b32_e32 v4, 0xffff0000, v3
	v_and_b32_e32 v2, 0xffff0000, v2
	v_pk_add_f32 v[2:3], v[4:5], v[2:3] op_sel_hi:[0,1]
	v_and_b32_e32 v3, 0x7f800000, v2
	v_cmp_ne_u32_e32 vcc, s70, v3
                                        ; implicit-def: $vgpr10
	s_and_saveexec_b64 s[24:25], vcc
	s_xor_b64 s[24:25], exec, s[24:25]
; %bb.297:                              ;   in Loop: Header=BB8_49 Depth=1
	v_bfe_u32 v3, v2, 16, 1
	v_add3_u32 v10, v2, v3, s71
                                        ; implicit-def: $vgpr2_vgpr3
; %bb.298:                              ;   in Loop: Header=BB8_49 Depth=1
	s_andn2_saveexec_b64 s[24:25], s[24:25]
; %bb.299:                              ;   in Loop: Header=BB8_49 Depth=1
	v_or_b32_e32 v3, 0x10000, v2
	v_cmp_eq_u32_sdwa vcc, v2, v60 src0_sel:WORD_0 src1_sel:DWORD
	v_cndmask_b32_e32 v10, v3, v2, vcc
; %bb.300:                              ;   in Loop: Header=BB8_49 Depth=1
	s_or_b64 exec, exec, s[24:25]
	v_lshlrev_b32_e32 v2, 16, v15
	v_lshlrev_b32_e32 v4, 16, v11
	v_pk_add_f32 v[2:3], v[2:3], v[4:5] op_sel_hi:[0,1]
	v_and_b32_e32 v3, 0x7f800000, v2
	v_cmp_ne_u32_e32 vcc, s70, v3
                                        ; implicit-def: $vgpr14
	s_and_saveexec_b64 s[24:25], vcc
	s_xor_b64 s[24:25], exec, s[24:25]
; %bb.301:                              ;   in Loop: Header=BB8_49 Depth=1
	v_bfe_u32 v3, v2, 16, 1
	v_add3_u32 v14, v2, v3, s71
                                        ; implicit-def: $vgpr2_vgpr3
; %bb.302:                              ;   in Loop: Header=BB8_49 Depth=1
	s_andn2_saveexec_b64 s[24:25], s[24:25]
; %bb.303:                              ;   in Loop: Header=BB8_49 Depth=1
	v_or_b32_e32 v3, 0x10000, v2
	v_cmp_eq_u32_sdwa vcc, v2, v60 src0_sel:WORD_0 src1_sel:DWORD
	v_cndmask_b32_e32 v14, v3, v2, vcc
; %bb.304:                              ;   in Loop: Header=BB8_49 Depth=1
	s_or_b64 exec, exec, s[24:25]
	v_mov_b32_e32 v2, v11
	v_and_b32_e32 v4, 0xffff0000, v15
	v_and_b32_e32 v2, 0xffff0000, v2
	v_pk_add_f32 v[2:3], v[4:5], v[2:3] op_sel_hi:[0,1]
	v_and_b32_e32 v3, 0x7f800000, v2
	v_cmp_ne_u32_e32 vcc, s70, v3
                                        ; implicit-def: $vgpr4
	s_and_saveexec_b64 s[24:25], vcc
	s_xor_b64 s[24:25], exec, s[24:25]
; %bb.305:                              ;   in Loop: Header=BB8_49 Depth=1
	v_bfe_u32 v3, v2, 16, 1
	v_add3_u32 v4, v2, v3, s71
                                        ; implicit-def: $vgpr2_vgpr3
; %bb.306:                              ;   in Loop: Header=BB8_49 Depth=1
	s_andn2_saveexec_b64 s[24:25], s[24:25]
; %bb.307:                              ;   in Loop: Header=BB8_49 Depth=1
	v_or_b32_e32 v3, 0x10000, v2
	v_cmp_eq_u32_sdwa vcc, v2, v60 src0_sel:WORD_0 src1_sel:DWORD
	v_cndmask_b32_e32 v4, v3, v2, vcc
; %bb.308:                              ;   in Loop: Header=BB8_49 Depth=1
	s_or_b64 exec, exec, s[24:25]
	v_lshlrev_b32_e32 v2, 16, v16
	v_lshlrev_b32_e32 v6, 16, v12
	v_pk_add_f32 v[2:3], v[2:3], v[6:7] op_sel_hi:[0,1]
	v_and_b32_e32 v3, 0x7f800000, v2
	v_cmp_ne_u32_e32 vcc, s70, v3
                                        ; implicit-def: $vgpr5
	s_and_saveexec_b64 s[24:25], vcc
	s_xor_b64 s[24:25], exec, s[24:25]
; %bb.309:                              ;   in Loop: Header=BB8_49 Depth=1
	v_bfe_u32 v3, v2, 16, 1
	v_add3_u32 v5, v2, v3, s71
                                        ; implicit-def: $vgpr2_vgpr3
; %bb.310:                              ;   in Loop: Header=BB8_49 Depth=1
	s_andn2_saveexec_b64 s[24:25], s[24:25]
; %bb.311:                              ;   in Loop: Header=BB8_49 Depth=1
	v_or_b32_e32 v3, 0x10000, v2
	v_cmp_eq_u32_sdwa vcc, v2, v60 src0_sel:WORD_0 src1_sel:DWORD
	v_cndmask_b32_e32 v5, v3, v2, vcc
; %bb.312:                              ;   in Loop: Header=BB8_49 Depth=1
	s_or_b64 exec, exec, s[24:25]
	v_mov_b32_e32 v2, v12
	v_mov_b32_e32 v3, v16
	v_and_b32_e32 v6, 0xffff0000, v3
	v_and_b32_e32 v2, 0xffff0000, v2
	v_pk_add_f32 v[2:3], v[6:7], v[2:3] op_sel_hi:[0,1]
	v_and_b32_e32 v3, 0x7f800000, v2
	v_cmp_ne_u32_e32 vcc, s70, v3
                                        ; implicit-def: $vgpr11
	s_and_saveexec_b64 s[24:25], vcc
	s_xor_b64 s[24:25], exec, s[24:25]
; %bb.313:                              ;   in Loop: Header=BB8_49 Depth=1
	v_bfe_u32 v3, v2, 16, 1
	v_add3_u32 v11, v2, v3, s71
                                        ; implicit-def: $vgpr2_vgpr3
; %bb.314:                              ;   in Loop: Header=BB8_49 Depth=1
	s_andn2_saveexec_b64 s[24:25], s[24:25]
; %bb.315:                              ;   in Loop: Header=BB8_49 Depth=1
	v_or_b32_e32 v3, 0x10000, v2
	v_cmp_eq_u32_sdwa vcc, v2, v60 src0_sel:WORD_0 src1_sel:DWORD
	v_cndmask_b32_e32 v11, v3, v2, vcc
; %bb.316:                              ;   in Loop: Header=BB8_49 Depth=1
	s_or_b64 exec, exec, s[24:25]
	v_lshlrev_b32_e32 v2, 16, v17
	v_lshlrev_b32_e32 v6, 16, v13
	v_pk_add_f32 v[2:3], v[2:3], v[6:7] op_sel_hi:[0,1]
	v_and_b32_e32 v3, 0x7f800000, v2
	v_cmp_ne_u32_e32 vcc, s70, v3
                                        ; implicit-def: $vgpr6
	s_and_saveexec_b64 s[24:25], vcc
	s_xor_b64 s[24:25], exec, s[24:25]
; %bb.317:                              ;   in Loop: Header=BB8_49 Depth=1
	v_bfe_u32 v3, v2, 16, 1
	v_add3_u32 v6, v2, v3, s71
                                        ; implicit-def: $vgpr2_vgpr3
; %bb.318:                              ;   in Loop: Header=BB8_49 Depth=1
	s_andn2_saveexec_b64 s[24:25], s[24:25]
; %bb.319:                              ;   in Loop: Header=BB8_49 Depth=1
	v_or_b32_e32 v3, 0x10000, v2
	v_cmp_eq_u32_sdwa vcc, v2, v60 src0_sel:WORD_0 src1_sel:DWORD
	v_cndmask_b32_e32 v6, v3, v2, vcc
; %bb.320:                              ;   in Loop: Header=BB8_49 Depth=1
	s_or_b64 exec, exec, s[24:25]
	v_mov_b32_e32 v2, v13
	v_and_b32_e32 v8, 0xffff0000, v17
	v_and_b32_e32 v2, 0xffff0000, v2
	v_pk_add_f32 v[2:3], v[8:9], v[2:3] op_sel_hi:[0,1]
	v_and_b32_e32 v3, 0x7f800000, v2
	v_cmp_ne_u32_e32 vcc, s70, v3
                                        ; implicit-def: $vgpr7
	s_and_saveexec_b64 s[24:25], vcc
	s_xor_b64 s[24:25], exec, s[24:25]
; %bb.321:                              ;   in Loop: Header=BB8_49 Depth=1
	v_bfe_u32 v3, v2, 16, 1
	v_add3_u32 v7, v2, v3, s71
                                        ; implicit-def: $vgpr2_vgpr3
; %bb.322:                              ;   in Loop: Header=BB8_49 Depth=1
	s_andn2_saveexec_b64 s[24:25], s[24:25]
; %bb.323:                              ;   in Loop: Header=BB8_49 Depth=1
	v_or_b32_e32 v3, 0x10000, v2
	v_cmp_eq_u32_sdwa vcc, v2, v60 src0_sel:WORD_0 src1_sel:DWORD
	v_cndmask_b32_e32 v7, v3, v2, vcc
; %bb.324:                              ;   in Loop: Header=BB8_49 Depth=1
	s_or_b64 exec, exec, s[24:25]
	v_lshrrev_b32_e32 v2, 16, v22
	v_and_or_b32 v17, v19, s72, v2
	v_lshrrev_b32_e32 v2, 16, v26
	v_and_or_b32 v16, v18, s72, v2
	;; [unrolled: 2-line block ×5, first 2 shown]
	v_lshrrev_b32_e32 v2, 16, v25
	v_lshrrev_b32_e32 v4, 16, v5
	;; [unrolled: 1-line block ×3, first 2 shown]
	v_and_or_b32 v2, v10, s72, v2
	v_and_or_b32 v4, v11, s72, v4
	;; [unrolled: 1-line block ×3, first 2 shown]
	global_store_dwordx4 v[0:1], v[16:19], off glc slc
	global_store_dwordx4 v[0:1], v[2:5], off offset:1024 glc slc
.LBB8_325:                              ;   in Loop: Header=BB8_49 Depth=1
	s_or_b64 exec, exec, s[22:23]
	v_accvgpr_read_b32 v0, a54
	v_lshlrev_b32_e32 v14, 11, v0
	v_accvgpr_read_b32 v3, a51
	v_cmp_ne_u32_e32 vcc, v3, v14
	s_mov_b64 s[22:23], 0
	v_mov_b32_e32 v19, 0
                                        ; implicit-def: $vgpr20
                                        ; implicit-def: $vgpr0
	s_and_saveexec_b64 s[48:49], vcc
	s_cbranch_execz .LBB8_440
; %bb.326:                              ;   in Loop: Header=BB8_49 Depth=1
	v_lshlrev_b32_e32 v1, 6, v61
	v_sub_u32_e32 v1, v31, v1
	v_ashrrev_i32_e32 v2, 31, v1
	v_lshrrev_b32_e32 v2, 26, v2
	v_add_u32_e32 v2, v1, v2
	v_sub_u32_e32 v0, v3, v14
	v_ashrrev_i32_e32 v3, 6, v2
	v_and_b32_e32 v2, 0xffffffc0, v2
	v_sub_u32_e32 v15, v1, v2
	v_lshlrev_b32_e32 v1, 4, v15
	v_lshl_add_u32 v1, v3, 10, v1
	v_add_u32_e32 v10, v1, v14
	v_sub_u32_e32 v19, v0, v1
	v_ashrrev_i32_e32 v1, 31, v0
	v_lshrrev_b32_e32 v1, 22, v1
	v_add_u32_e32 v1, v0, v1
	v_and_b32_e32 v16, 0xfffffc00, v1
	v_sub_u32_e32 v17, v0, v16
	v_ashrrev_i32_e32 v2, 10, v1
	v_cmp_lt_i32_e64 s[22:23], 15, v17
	v_addc_co_u32_e64 v0, vcc, 0, v2, s[22:23]
	v_sub_u32_e32 v18, v0, v3
	v_accvgpr_read_b32 v0, a52
	v_ashrrev_i32_e32 v11, 31, v10
	v_accvgpr_read_b32 v1, a53
	v_add_co_u32_e32 v0, vcc, v10, v0
	v_addc_co_u32_e32 v1, vcc, v11, v1, vcc
	v_cmp_lt_i32_e32 vcc, 15, v19
	s_mov_b64 s[26:27], 0
	s_and_saveexec_b64 s[50:51], vcc
	s_cbranch_execz .LBB8_403
; %bb.327:                              ;   in Loop: Header=BB8_49 Depth=1
	s_trap 2
	ds_read_b128 v[2:5], v0
	s_mov_b64 s[56:57], 0
	s_mov_b64 s[52:53], 0
                                        ; implicit-def: $sgpr54_sgpr55
	s_waitcnt lgkmcnt(0)
	v_add_co_u32_e32 v2, vcc, v2, v10
	v_addc_co_u32_e32 v3, vcc, v3, v11, vcc
	v_add_co_u32_e32 v10, vcc, v4, v10
	v_addc_co_u32_e32 v11, vcc, v5, v11, vcc
	s_branch .LBB8_329
.LBB8_328:                              ;   in Loop: Header=BB8_329 Depth=2
	s_or_b64 exec, exec, s[24:25]
	v_cmp_gt_i32_e32 vcc, 16, v19
	s_or_b64 s[52:53], vcc, s[52:53]
	s_andn2_b64 s[24:25], s[54:55], exec
	s_and_b64 s[26:27], s[56:57], exec
	s_or_b64 s[54:55], s[24:25], s[26:27]
	s_andn2_b64 exec, exec, s[52:53]
	s_cbranch_execz .LBB8_402
.LBB8_329:                              ;   Parent Loop BB8_49 Depth=1
                                        ; =>  This Loop Header: Depth=2
                                        ;       Child Loop BB8_330 Depth 3
                                        ;       Child Loop BB8_367 Depth 3
	v_lshrrev_b32_e64 v4, 6, s33
	v_add_u32_e32 v4, 0xa0, v4
	s_mov_b64 s[58:59], -1
	s_mov_b64 s[60:61], 0
.LBB8_330:                              ;   Parent Loop BB8_49 Depth=1
                                        ;     Parent Loop BB8_329 Depth=2
                                        ; =>    This Inner Loop Header: Depth=3
	s_cmp_eq_u32 s60, 1
	s_cselect_b64 s[24:25], -1, 0
	v_cndmask_b32_e64 v13, v3, v11, s[24:25]
	v_cndmask_b32_e64 v12, v2, v10, s[24:25]
	global_load_dwordx4 v[6:9], v[12:13], off glc slc
	v_add_co_u32_e32 v5, vcc, s67, v12
	s_cmp_eq_u32 s60, 0
	v_addc_co_u32_e32 v12, vcc, 0, v13, vcc
	s_cselect_b64 vcc, -1, 0
	s_and_b64 s[26:27], exec, s[58:59]
	s_mov_b64 s[60:61], 1
	v_cndmask_b32_e64 v10, v10, v5, s[24:25]
	s_mov_b64 s[58:59], 0
	v_cndmask_b32_e32 v3, v3, v12, vcc
	v_cndmask_b32_e32 v2, v2, v5, vcc
	v_cndmask_b32_e64 v11, v11, v12, s[24:25]
	s_mov_b64 vcc, s[26:27]
	s_waitcnt vmcnt(0)
	buffer_store_dword v7, v4, s[0:3], 0 offen offset:4
	buffer_store_dword v6, v4, s[0:3], 0 offen
	buffer_store_dword v9, v4, s[0:3], 0 offen offset:12
	buffer_store_dword v8, v4, s[0:3], 0 offen offset:8
	v_mov_b32_e32 v4, v54
	s_cbranch_vccnz .LBB8_330
; %bb.331:                              ;   in Loop: Header=BB8_329 Depth=2
	s_and_saveexec_b64 s[24:25], s[56:57]
	s_cbranch_execz .LBB8_365
; %bb.332:                              ;   in Loop: Header=BB8_329 Depth=2
	buffer_load_dword v7, off, s[0:3], s33 offset:208
	buffer_load_dword v6, off, s[0:3], s33 offset:192
	;; [unrolled: 1-line block ×8, first 2 shown]
                                        ; implicit-def: $vgpr20
	s_waitcnt vmcnt(7)
	v_lshlrev_b32_e32 v8, 16, v7
	s_waitcnt vmcnt(6)
	v_lshlrev_b32_e32 v12, 16, v6
	v_pk_add_f32 v[12:13], v[8:9], v[12:13] op_sel_hi:[0,1]
	v_and_b32_e32 v8, 0x7f800000, v12
	v_cmp_ne_u32_e32 vcc, s70, v8
	s_and_saveexec_b64 s[26:27], vcc
	s_xor_b64 s[26:27], exec, s[26:27]
; %bb.333:                              ;   in Loop: Header=BB8_329 Depth=2
	v_bfe_u32 v8, v12, 16, 1
	v_add3_u32 v20, v12, v8, s71
                                        ; implicit-def: $vgpr12_vgpr13
; %bb.334:                              ;   in Loop: Header=BB8_329 Depth=2
	s_andn2_saveexec_b64 s[26:27], s[26:27]
; %bb.335:                              ;   in Loop: Header=BB8_329 Depth=2
	v_or_b32_e32 v8, 0x10000, v12
	v_cmp_eq_u32_sdwa vcc, v12, v60 src0_sel:WORD_0 src1_sel:DWORD
	v_cndmask_b32_e32 v20, v8, v12, vcc
; %bb.336:                              ;   in Loop: Header=BB8_329 Depth=2
	s_or_b64 exec, exec, s[26:27]
	v_and_b32_e32 v8, 0xffff0000, v7
	v_and_b32_e32 v6, 0xffff0000, v6
	v_pk_add_f32 v[12:13], v[8:9], v[6:7] op_sel_hi:[0,1]
	v_and_b32_e32 v6, 0x7f800000, v12
	v_cmp_ne_u32_e32 vcc, s70, v6
                                        ; implicit-def: $vgpr23
	s_and_saveexec_b64 s[26:27], vcc
	s_xor_b64 s[26:27], exec, s[26:27]
; %bb.337:                              ;   in Loop: Header=BB8_329 Depth=2
	v_bfe_u32 v6, v12, 16, 1
	v_add3_u32 v23, v12, v6, s71
                                        ; implicit-def: $vgpr12_vgpr13
; %bb.338:                              ;   in Loop: Header=BB8_329 Depth=2
	s_andn2_saveexec_b64 s[26:27], s[26:27]
; %bb.339:                              ;   in Loop: Header=BB8_329 Depth=2
	v_or_b32_e32 v6, 0x10000, v12
	v_cmp_eq_u32_sdwa vcc, v12, v60 src0_sel:WORD_0 src1_sel:DWORD
	v_cndmask_b32_e32 v23, v6, v12, vcc
; %bb.340:                              ;   in Loop: Header=BB8_329 Depth=2
	s_or_b64 exec, exec, s[26:27]
	s_waitcnt vmcnt(2)
	v_lshlrev_b32_e32 v6, 16, v26
	v_lshlrev_b32_e32 v8, 16, v5
	v_pk_add_f32 v[12:13], v[6:7], v[8:9] op_sel_hi:[0,1]
	v_and_b32_e32 v6, 0x7f800000, v12
	v_cmp_ne_u32_e32 vcc, s70, v6
                                        ; implicit-def: $vgpr24
	s_and_saveexec_b64 s[26:27], vcc
	s_xor_b64 s[26:27], exec, s[26:27]
; %bb.341:                              ;   in Loop: Header=BB8_329 Depth=2
	v_bfe_u32 v6, v12, 16, 1
	v_add3_u32 v24, v12, v6, s71
                                        ; implicit-def: $vgpr12_vgpr13
; %bb.342:                              ;   in Loop: Header=BB8_329 Depth=2
	s_andn2_saveexec_b64 s[26:27], s[26:27]
; %bb.343:                              ;   in Loop: Header=BB8_329 Depth=2
	v_or_b32_e32 v6, 0x10000, v12
	v_cmp_eq_u32_sdwa vcc, v12, v60 src0_sel:WORD_0 src1_sel:DWORD
	v_cndmask_b32_e32 v24, v6, v12, vcc
; %bb.344:                              ;   in Loop: Header=BB8_329 Depth=2
	s_or_b64 exec, exec, s[26:27]
	v_and_b32_e32 v6, 0xffff0000, v26
	v_and_b32_e32 v8, 0xffff0000, v5
	v_pk_add_f32 v[12:13], v[6:7], v[8:9] op_sel_hi:[0,1]
	v_and_b32_e32 v5, 0x7f800000, v12
	v_cmp_ne_u32_e32 vcc, s70, v5
                                        ; implicit-def: $vgpr26
	s_and_saveexec_b64 s[26:27], vcc
	s_xor_b64 s[26:27], exec, s[26:27]
; %bb.345:                              ;   in Loop: Header=BB8_329 Depth=2
	v_bfe_u32 v5, v12, 16, 1
	v_add3_u32 v26, v12, v5, s71
                                        ; implicit-def: $vgpr12_vgpr13
; %bb.346:                              ;   in Loop: Header=BB8_329 Depth=2
	s_andn2_saveexec_b64 s[26:27], s[26:27]
; %bb.347:                              ;   in Loop: Header=BB8_329 Depth=2
	v_or_b32_e32 v5, 0x10000, v12
	v_cmp_eq_u32_sdwa vcc, v12, v60 src0_sel:WORD_0 src1_sel:DWORD
	v_cndmask_b32_e32 v26, v5, v12, vcc
; %bb.348:                              ;   in Loop: Header=BB8_329 Depth=2
	s_or_b64 exec, exec, s[26:27]
	s_waitcnt vmcnt(1)
	v_lshlrev_b32_e32 v6, 16, v4
	v_lshlrev_b32_e32 v8, 16, v25
	v_pk_add_f32 v[12:13], v[6:7], v[8:9] op_sel_hi:[0,1]
	v_and_b32_e32 v5, 0x7f800000, v12
	v_cmp_ne_u32_e32 vcc, s70, v5
                                        ; implicit-def: $vgpr5
	s_and_saveexec_b64 s[26:27], vcc
	s_xor_b64 s[26:27], exec, s[26:27]
; %bb.349:                              ;   in Loop: Header=BB8_329 Depth=2
	v_bfe_u32 v5, v12, 16, 1
	v_add3_u32 v5, v12, v5, s71
                                        ; implicit-def: $vgpr12_vgpr13
; %bb.350:                              ;   in Loop: Header=BB8_329 Depth=2
	s_andn2_saveexec_b64 s[26:27], s[26:27]
; %bb.351:                              ;   in Loop: Header=BB8_329 Depth=2
	v_or_b32_e32 v5, 0x10000, v12
	v_cmp_eq_u32_sdwa vcc, v12, v60 src0_sel:WORD_0 src1_sel:DWORD
	v_cndmask_b32_e32 v5, v5, v12, vcc
; %bb.352:                              ;   in Loop: Header=BB8_329 Depth=2
	s_or_b64 exec, exec, s[26:27]
	v_and_b32_e32 v4, 0xffff0000, v4
	v_and_b32_e32 v6, 0xffff0000, v25
	v_pk_add_f32 v[12:13], v[4:5], v[6:7] op_sel_hi:[0,1]
	v_and_b32_e32 v4, 0x7f800000, v12
	v_cmp_ne_u32_e32 vcc, s70, v4
                                        ; implicit-def: $vgpr4
	s_and_saveexec_b64 s[26:27], vcc
	s_xor_b64 s[26:27], exec, s[26:27]
; %bb.353:                              ;   in Loop: Header=BB8_329 Depth=2
	v_bfe_u32 v4, v12, 16, 1
	v_add3_u32 v4, v12, v4, s71
                                        ; implicit-def: $vgpr12_vgpr13
; %bb.354:                              ;   in Loop: Header=BB8_329 Depth=2
	s_andn2_saveexec_b64 s[26:27], s[26:27]
; %bb.355:                              ;   in Loop: Header=BB8_329 Depth=2
	v_or_b32_e32 v4, 0x10000, v12
	v_cmp_eq_u32_sdwa vcc, v12, v60 src0_sel:WORD_0 src1_sel:DWORD
	v_cndmask_b32_e32 v4, v4, v12, vcc
; %bb.356:                              ;   in Loop: Header=BB8_329 Depth=2
	s_or_b64 exec, exec, s[26:27]
	s_waitcnt vmcnt(0)
	v_lshlrev_b32_e32 v6, 16, v22
	v_lshlrev_b32_e32 v8, 16, v21
	v_pk_add_f32 v[12:13], v[6:7], v[8:9] op_sel_hi:[0,1]
	v_and_b32_e32 v6, 0x7f800000, v12
	v_cmp_ne_u32_e32 vcc, s70, v6
                                        ; implicit-def: $vgpr6
	s_and_saveexec_b64 s[26:27], vcc
	s_xor_b64 s[26:27], exec, s[26:27]
; %bb.357:                              ;   in Loop: Header=BB8_329 Depth=2
	v_bfe_u32 v6, v12, 16, 1
	v_add3_u32 v6, v12, v6, s71
                                        ; implicit-def: $vgpr12_vgpr13
; %bb.358:                              ;   in Loop: Header=BB8_329 Depth=2
	s_andn2_saveexec_b64 s[26:27], s[26:27]
; %bb.359:                              ;   in Loop: Header=BB8_329 Depth=2
	v_or_b32_e32 v6, 0x10000, v12
	v_cmp_eq_u32_sdwa vcc, v12, v60 src0_sel:WORD_0 src1_sel:DWORD
	v_cndmask_b32_e32 v6, v6, v12, vcc
; %bb.360:                              ;   in Loop: Header=BB8_329 Depth=2
	s_or_b64 exec, exec, s[26:27]
	v_and_b32_e32 v8, 0xffff0000, v22
	v_and_b32_e32 v12, 0xffff0000, v21
	v_pk_add_f32 v[12:13], v[8:9], v[12:13] op_sel_hi:[0,1]
	v_and_b32_e32 v7, 0x7f800000, v12
	v_cmp_ne_u32_e32 vcc, s70, v7
                                        ; implicit-def: $vgpr7
	s_and_saveexec_b64 s[26:27], vcc
	s_xor_b64 s[26:27], exec, s[26:27]
; %bb.361:                              ;   in Loop: Header=BB8_329 Depth=2
	v_bfe_u32 v7, v12, 16, 1
	v_add3_u32 v7, v12, v7, s71
                                        ; implicit-def: $vgpr12_vgpr13
; %bb.362:                              ;   in Loop: Header=BB8_329 Depth=2
	s_andn2_saveexec_b64 s[26:27], s[26:27]
; %bb.363:                              ;   in Loop: Header=BB8_329 Depth=2
	v_or_b32_e32 v7, 0x10000, v12
	v_cmp_eq_u32_sdwa vcc, v12, v60 src0_sel:WORD_0 src1_sel:DWORD
	v_cndmask_b32_e32 v7, v7, v12, vcc
; %bb.364:                              ;   in Loop: Header=BB8_329 Depth=2
	s_or_b64 exec, exec, s[26:27]
	v_lshrrev_b32_e32 v8, 16, v24
	v_lshrrev_b32_e32 v5, 16, v5
	v_and_or_b32 v21, v26, s72, v8
	v_lshrrev_b32_e32 v8, 16, v20
	v_and_or_b32 v22, v4, s72, v5
	;; [unrolled: 2-line block ×3, first 2 shown]
	v_and_or_b32 v23, v7, s72, v4
	buffer_store_dword v21, off, s[0:3], s33 offset:196
	buffer_store_dword v20, off, s[0:3], s33 offset:192
	;; [unrolled: 1-line block ×4, first 2 shown]
	global_store_dwordx4 v[0:1], v[20:23], off glc slc
	v_add_co_u32_e32 v0, vcc, v53, v0
	v_addc_co_u32_e32 v1, vcc, v55, v1, vcc
.LBB8_365:                              ;   in Loop: Header=BB8_329 Depth=2
	s_or_b64 exec, exec, s[24:25]
	v_add_co_u32_e32 v2, vcc, v2, v52
	v_addc_co_u32_e32 v3, vcc, v3, v51, vcc
	v_add_co_u32_e32 v10, vcc, v10, v52
	v_sub_u32_e32 v19, v19, v50
	v_addc_co_u32_e32 v11, vcc, v11, v51, vcc
	v_cmp_lt_i32_e64 s[56:57], 15, v19
	s_and_saveexec_b64 s[58:59], s[56:57]
	s_cbranch_execz .LBB8_368
; %bb.366:                              ;   in Loop: Header=BB8_329 Depth=2
	v_lshrrev_b32_e64 v4, 6, s33
	v_add_u32_e32 v4, 0xc0, v4
	s_mov_b64 s[62:63], 0
	s_mov_b64 s[60:61], -1
.LBB8_367:                              ;   Parent Loop BB8_49 Depth=1
                                        ;     Parent Loop BB8_329 Depth=2
                                        ; =>    This Inner Loop Header: Depth=3
	s_cmp_eq_u32 s62, 1
	s_cselect_b64 s[24:25], -1, 0
	v_cndmask_b32_e64 v13, v3, v11, s[24:25]
	v_cndmask_b32_e64 v12, v2, v10, s[24:25]
	global_load_dwordx4 v[6:9], v[12:13], off glc slc
	v_add_co_u32_e32 v5, vcc, s67, v12
	s_cmp_eq_u32 s62, 0
	v_addc_co_u32_e32 v12, vcc, 0, v13, vcc
	s_cselect_b64 vcc, -1, 0
	s_and_b64 s[26:27], exec, s[60:61]
	s_mov_b64 s[62:63], 1
	v_cndmask_b32_e64 v10, v10, v5, s[24:25]
	s_mov_b64 s[60:61], 0
	v_cndmask_b32_e32 v3, v3, v12, vcc
	v_cndmask_b32_e32 v2, v2, v5, vcc
	v_cndmask_b32_e64 v11, v11, v12, s[24:25]
	s_mov_b64 vcc, s[26:27]
	s_waitcnt vmcnt(0)
	buffer_store_dword v7, v4, s[0:3], 0 offen offset:4
	buffer_store_dword v6, v4, s[0:3], 0 offen
	buffer_store_dword v9, v4, s[0:3], 0 offen offset:12
	buffer_store_dword v8, v4, s[0:3], 0 offen offset:8
	v_mov_b32_e32 v4, v49
	s_cbranch_vccnz .LBB8_367
.LBB8_368:                              ;   in Loop: Header=BB8_329 Depth=2
	s_or_b64 exec, exec, s[58:59]
	buffer_load_dword v7, off, s[0:3], s33 offset:176
	buffer_load_dword v6, off, s[0:3], s33 offset:160
	;; [unrolled: 1-line block ×8, first 2 shown]
                                        ; implicit-def: $vgpr20
	s_waitcnt vmcnt(7)
	v_lshlrev_b32_e32 v8, 16, v7
	s_waitcnt vmcnt(6)
	v_lshlrev_b32_e32 v12, 16, v6
	v_pk_add_f32 v[12:13], v[8:9], v[12:13] op_sel_hi:[0,1]
	v_and_b32_e32 v8, 0x7f800000, v12
	v_cmp_ne_u32_e32 vcc, s70, v8
	s_and_saveexec_b64 s[24:25], vcc
	s_xor_b64 s[24:25], exec, s[24:25]
; %bb.369:                              ;   in Loop: Header=BB8_329 Depth=2
	v_bfe_u32 v8, v12, 16, 1
	v_add3_u32 v20, v12, v8, s71
                                        ; implicit-def: $vgpr12_vgpr13
; %bb.370:                              ;   in Loop: Header=BB8_329 Depth=2
	s_andn2_saveexec_b64 s[24:25], s[24:25]
; %bb.371:                              ;   in Loop: Header=BB8_329 Depth=2
	v_or_b32_e32 v8, 0x10000, v12
	v_cmp_eq_u32_sdwa vcc, v12, v60 src0_sel:WORD_0 src1_sel:DWORD
	v_cndmask_b32_e32 v20, v8, v12, vcc
; %bb.372:                              ;   in Loop: Header=BB8_329 Depth=2
	s_or_b64 exec, exec, s[24:25]
	v_and_b32_e32 v8, 0xffff0000, v7
	v_and_b32_e32 v6, 0xffff0000, v6
	v_pk_add_f32 v[12:13], v[8:9], v[6:7] op_sel_hi:[0,1]
	v_and_b32_e32 v6, 0x7f800000, v12
	v_cmp_ne_u32_e32 vcc, s70, v6
                                        ; implicit-def: $vgpr23
	s_and_saveexec_b64 s[24:25], vcc
	s_xor_b64 s[24:25], exec, s[24:25]
; %bb.373:                              ;   in Loop: Header=BB8_329 Depth=2
	v_bfe_u32 v6, v12, 16, 1
	v_add3_u32 v23, v12, v6, s71
                                        ; implicit-def: $vgpr12_vgpr13
; %bb.374:                              ;   in Loop: Header=BB8_329 Depth=2
	s_andn2_saveexec_b64 s[24:25], s[24:25]
; %bb.375:                              ;   in Loop: Header=BB8_329 Depth=2
	v_or_b32_e32 v6, 0x10000, v12
	v_cmp_eq_u32_sdwa vcc, v12, v60 src0_sel:WORD_0 src1_sel:DWORD
	v_cndmask_b32_e32 v23, v6, v12, vcc
; %bb.376:                              ;   in Loop: Header=BB8_329 Depth=2
	s_or_b64 exec, exec, s[24:25]
	s_waitcnt vmcnt(2)
	v_lshlrev_b32_e32 v6, 16, v26
	v_lshlrev_b32_e32 v8, 16, v5
	v_pk_add_f32 v[12:13], v[6:7], v[8:9] op_sel_hi:[0,1]
	v_and_b32_e32 v6, 0x7f800000, v12
	v_cmp_ne_u32_e32 vcc, s70, v6
                                        ; implicit-def: $vgpr24
	s_and_saveexec_b64 s[24:25], vcc
	s_xor_b64 s[24:25], exec, s[24:25]
; %bb.377:                              ;   in Loop: Header=BB8_329 Depth=2
	v_bfe_u32 v6, v12, 16, 1
	v_add3_u32 v24, v12, v6, s71
                                        ; implicit-def: $vgpr12_vgpr13
; %bb.378:                              ;   in Loop: Header=BB8_329 Depth=2
	s_andn2_saveexec_b64 s[24:25], s[24:25]
; %bb.379:                              ;   in Loop: Header=BB8_329 Depth=2
	v_or_b32_e32 v6, 0x10000, v12
	v_cmp_eq_u32_sdwa vcc, v12, v60 src0_sel:WORD_0 src1_sel:DWORD
	v_cndmask_b32_e32 v24, v6, v12, vcc
; %bb.380:                              ;   in Loop: Header=BB8_329 Depth=2
	s_or_b64 exec, exec, s[24:25]
	v_and_b32_e32 v6, 0xffff0000, v26
	v_and_b32_e32 v8, 0xffff0000, v5
	v_pk_add_f32 v[12:13], v[6:7], v[8:9] op_sel_hi:[0,1]
	v_and_b32_e32 v5, 0x7f800000, v12
	v_cmp_ne_u32_e32 vcc, s70, v5
                                        ; implicit-def: $vgpr26
	s_and_saveexec_b64 s[24:25], vcc
	s_xor_b64 s[24:25], exec, s[24:25]
; %bb.381:                              ;   in Loop: Header=BB8_329 Depth=2
	v_bfe_u32 v5, v12, 16, 1
	v_add3_u32 v26, v12, v5, s71
                                        ; implicit-def: $vgpr12_vgpr13
; %bb.382:                              ;   in Loop: Header=BB8_329 Depth=2
	s_andn2_saveexec_b64 s[24:25], s[24:25]
; %bb.383:                              ;   in Loop: Header=BB8_329 Depth=2
	v_or_b32_e32 v5, 0x10000, v12
	v_cmp_eq_u32_sdwa vcc, v12, v60 src0_sel:WORD_0 src1_sel:DWORD
	v_cndmask_b32_e32 v26, v5, v12, vcc
; %bb.384:                              ;   in Loop: Header=BB8_329 Depth=2
	s_or_b64 exec, exec, s[24:25]
	s_waitcnt vmcnt(1)
	v_lshlrev_b32_e32 v6, 16, v4
	v_lshlrev_b32_e32 v8, 16, v25
	v_pk_add_f32 v[12:13], v[6:7], v[8:9] op_sel_hi:[0,1]
	v_and_b32_e32 v5, 0x7f800000, v12
	v_cmp_ne_u32_e32 vcc, s70, v5
                                        ; implicit-def: $vgpr5
	s_and_saveexec_b64 s[24:25], vcc
	s_xor_b64 s[24:25], exec, s[24:25]
; %bb.385:                              ;   in Loop: Header=BB8_329 Depth=2
	v_bfe_u32 v5, v12, 16, 1
	v_add3_u32 v5, v12, v5, s71
                                        ; implicit-def: $vgpr12_vgpr13
; %bb.386:                              ;   in Loop: Header=BB8_329 Depth=2
	s_andn2_saveexec_b64 s[24:25], s[24:25]
; %bb.387:                              ;   in Loop: Header=BB8_329 Depth=2
	v_or_b32_e32 v5, 0x10000, v12
	v_cmp_eq_u32_sdwa vcc, v12, v60 src0_sel:WORD_0 src1_sel:DWORD
	v_cndmask_b32_e32 v5, v5, v12, vcc
; %bb.388:                              ;   in Loop: Header=BB8_329 Depth=2
	s_or_b64 exec, exec, s[24:25]
	v_and_b32_e32 v4, 0xffff0000, v4
	v_and_b32_e32 v6, 0xffff0000, v25
	v_pk_add_f32 v[12:13], v[4:5], v[6:7] op_sel_hi:[0,1]
	v_and_b32_e32 v4, 0x7f800000, v12
	v_cmp_ne_u32_e32 vcc, s70, v4
                                        ; implicit-def: $vgpr4
	s_and_saveexec_b64 s[24:25], vcc
	s_xor_b64 s[24:25], exec, s[24:25]
; %bb.389:                              ;   in Loop: Header=BB8_329 Depth=2
	v_bfe_u32 v4, v12, 16, 1
	v_add3_u32 v4, v12, v4, s71
                                        ; implicit-def: $vgpr12_vgpr13
; %bb.390:                              ;   in Loop: Header=BB8_329 Depth=2
	s_andn2_saveexec_b64 s[24:25], s[24:25]
; %bb.391:                              ;   in Loop: Header=BB8_329 Depth=2
	v_or_b32_e32 v4, 0x10000, v12
	v_cmp_eq_u32_sdwa vcc, v12, v60 src0_sel:WORD_0 src1_sel:DWORD
	v_cndmask_b32_e32 v4, v4, v12, vcc
; %bb.392:                              ;   in Loop: Header=BB8_329 Depth=2
	s_or_b64 exec, exec, s[24:25]
	s_waitcnt vmcnt(0)
	v_lshlrev_b32_e32 v6, 16, v22
	v_lshlrev_b32_e32 v8, 16, v21
	v_pk_add_f32 v[12:13], v[6:7], v[8:9] op_sel_hi:[0,1]
	v_and_b32_e32 v6, 0x7f800000, v12
	v_cmp_ne_u32_e32 vcc, s70, v6
                                        ; implicit-def: $vgpr6
	s_and_saveexec_b64 s[24:25], vcc
	s_xor_b64 s[24:25], exec, s[24:25]
; %bb.393:                              ;   in Loop: Header=BB8_329 Depth=2
	v_bfe_u32 v6, v12, 16, 1
	v_add3_u32 v6, v12, v6, s71
                                        ; implicit-def: $vgpr12_vgpr13
; %bb.394:                              ;   in Loop: Header=BB8_329 Depth=2
	s_andn2_saveexec_b64 s[24:25], s[24:25]
; %bb.395:                              ;   in Loop: Header=BB8_329 Depth=2
	v_or_b32_e32 v6, 0x10000, v12
	v_cmp_eq_u32_sdwa vcc, v12, v60 src0_sel:WORD_0 src1_sel:DWORD
	v_cndmask_b32_e32 v6, v6, v12, vcc
; %bb.396:                              ;   in Loop: Header=BB8_329 Depth=2
	s_or_b64 exec, exec, s[24:25]
	v_and_b32_e32 v8, 0xffff0000, v22
	v_and_b32_e32 v12, 0xffff0000, v21
	v_pk_add_f32 v[12:13], v[8:9], v[12:13] op_sel_hi:[0,1]
	v_and_b32_e32 v7, 0x7f800000, v12
	v_cmp_ne_u32_e32 vcc, s70, v7
                                        ; implicit-def: $vgpr7
	s_and_saveexec_b64 s[24:25], vcc
	s_xor_b64 s[24:25], exec, s[24:25]
; %bb.397:                              ;   in Loop: Header=BB8_329 Depth=2
	v_bfe_u32 v7, v12, 16, 1
	v_add3_u32 v7, v12, v7, s71
                                        ; implicit-def: $vgpr12_vgpr13
; %bb.398:                              ;   in Loop: Header=BB8_329 Depth=2
	s_andn2_saveexec_b64 s[24:25], s[24:25]
; %bb.399:                              ;   in Loop: Header=BB8_329 Depth=2
	v_or_b32_e32 v7, 0x10000, v12
	v_cmp_eq_u32_sdwa vcc, v12, v60 src0_sel:WORD_0 src1_sel:DWORD
	v_cndmask_b32_e32 v7, v7, v12, vcc
; %bb.400:                              ;   in Loop: Header=BB8_329 Depth=2
	s_or_b64 exec, exec, s[24:25]
	v_lshrrev_b32_e32 v8, 16, v24
	v_lshrrev_b32_e32 v5, 16, v5
	v_and_or_b32 v21, v26, s72, v8
	v_lshrrev_b32_e32 v8, 16, v20
	v_and_or_b32 v22, v4, s72, v5
	v_lshrrev_b32_e32 v4, 16, v6
	v_and_or_b32 v20, v23, s72, v8
	v_and_or_b32 v23, v7, s72, v4
	buffer_store_dword v21, off, s[0:3], s33 offset:164
	buffer_store_dword v20, off, s[0:3], s33 offset:160
	;; [unrolled: 1-line block ×4, first 2 shown]
	global_store_dwordx4 v[0:1], v[20:23], off glc slc
	v_add_co_u32_e32 v0, vcc, 0x400, v0
	v_sub_u32_e32 v18, v18, v36
	v_addc_co_u32_e32 v1, vcc, 0, v1, vcc
	s_and_saveexec_b64 s[24:25], s[56:57]
	s_cbranch_execz .LBB8_328
; %bb.401:                              ;   in Loop: Header=BB8_329 Depth=2
	v_add_co_u32_e32 v2, vcc, v2, v52
	v_addc_co_u32_e32 v3, vcc, v3, v51, vcc
	v_add_co_u32_e32 v10, vcc, v10, v52
	v_addc_co_u32_e32 v11, vcc, v11, v51, vcc
	;; [unrolled: 2-line block ×3, first 2 shown]
	v_sub_u32_e32 v19, v19, v50
	v_sub_u32_e32 v18, v18, v36
	s_branch .LBB8_328
.LBB8_402:                              ;   in Loop: Header=BB8_49 Depth=1
	s_or_b64 exec, exec, s[52:53]
	s_and_b64 s[26:27], s[54:55], exec
.LBB8_403:                              ;   in Loop: Header=BB8_49 Depth=1
	s_or_b64 exec, exec, s[50:51]
	s_and_saveexec_b64 s[24:25], s[26:27]
	s_cbranch_execz .LBB8_437
; %bb.404:                              ;   in Loop: Header=BB8_49 Depth=1
	buffer_load_dword v7, off, s[0:3], s33 offset:208
	buffer_load_dword v6, off, s[0:3], s33 offset:192
	;; [unrolled: 1-line block ×8, first 2 shown]
                                        ; implicit-def: $vgpr10
	s_waitcnt vmcnt(0)
	v_lshlrev_b32_e32 v2, 16, v7
	v_lshlrev_b32_e32 v8, 16, v6
	v_pk_add_f32 v[2:3], v[2:3], v[8:9] op_sel_hi:[0,1]
	v_and_b32_e32 v3, 0x7f800000, v2
	v_cmp_ne_u32_e32 vcc, s70, v3
	s_and_saveexec_b64 s[26:27], vcc
	s_xor_b64 s[26:27], exec, s[26:27]
; %bb.405:                              ;   in Loop: Header=BB8_49 Depth=1
	v_bfe_u32 v3, v2, 16, 1
	v_add3_u32 v10, v2, v3, s71
                                        ; implicit-def: $vgpr2_vgpr3
; %bb.406:                              ;   in Loop: Header=BB8_49 Depth=1
	s_andn2_saveexec_b64 s[26:27], s[26:27]
; %bb.407:                              ;   in Loop: Header=BB8_49 Depth=1
	v_or_b32_e32 v3, 0x10000, v2
	v_cmp_eq_u32_sdwa vcc, v2, v60 src0_sel:WORD_0 src1_sel:DWORD
	v_cndmask_b32_e32 v10, v3, v2, vcc
; %bb.408:                              ;   in Loop: Header=BB8_49 Depth=1
	s_or_b64 exec, exec, s[26:27]
	v_and_b32_e32 v2, 0xffff0000, v7
	v_and_b32_e32 v6, 0xffff0000, v6
	v_pk_add_f32 v[2:3], v[2:3], v[6:7] op_sel_hi:[0,1]
	v_and_b32_e32 v3, 0x7f800000, v2
	v_cmp_ne_u32_e32 vcc, s70, v3
                                        ; implicit-def: $vgpr13
	s_and_saveexec_b64 s[26:27], vcc
	s_xor_b64 s[26:27], exec, s[26:27]
; %bb.409:                              ;   in Loop: Header=BB8_49 Depth=1
	v_bfe_u32 v3, v2, 16, 1
	v_add3_u32 v13, v2, v3, s71
                                        ; implicit-def: $vgpr2_vgpr3
; %bb.410:                              ;   in Loop: Header=BB8_49 Depth=1
	s_andn2_saveexec_b64 s[26:27], s[26:27]
; %bb.411:                              ;   in Loop: Header=BB8_49 Depth=1
	v_or_b32_e32 v3, 0x10000, v2
	v_cmp_eq_u32_sdwa vcc, v2, v60 src0_sel:WORD_0 src1_sel:DWORD
	v_cndmask_b32_e32 v13, v3, v2, vcc
; %bb.412:                              ;   in Loop: Header=BB8_49 Depth=1
	s_or_b64 exec, exec, s[26:27]
	v_lshlrev_b32_e32 v2, 16, v21
	v_lshlrev_b32_e32 v6, 16, v5
	v_pk_add_f32 v[2:3], v[2:3], v[6:7] op_sel_hi:[0,1]
	v_and_b32_e32 v3, 0x7f800000, v2
	v_cmp_ne_u32_e32 vcc, s70, v3
                                        ; implicit-def: $vgpr19
	s_and_saveexec_b64 s[26:27], vcc
	s_xor_b64 s[26:27], exec, s[26:27]
; %bb.413:                              ;   in Loop: Header=BB8_49 Depth=1
	v_bfe_u32 v3, v2, 16, 1
	v_add3_u32 v19, v2, v3, s71
                                        ; implicit-def: $vgpr2_vgpr3
; %bb.414:                              ;   in Loop: Header=BB8_49 Depth=1
	s_andn2_saveexec_b64 s[26:27], s[26:27]
; %bb.415:                              ;   in Loop: Header=BB8_49 Depth=1
	v_or_b32_e32 v3, 0x10000, v2
	v_cmp_eq_u32_sdwa vcc, v2, v60 src0_sel:WORD_0 src1_sel:DWORD
	v_cndmask_b32_e32 v19, v3, v2, vcc
; %bb.416:                              ;   in Loop: Header=BB8_49 Depth=1
	s_or_b64 exec, exec, s[26:27]
	v_and_b32_e32 v2, 0xffff0000, v21
	v_and_b32_e32 v6, 0xffff0000, v5
	v_pk_add_f32 v[2:3], v[2:3], v[6:7] op_sel_hi:[0,1]
	v_and_b32_e32 v3, 0x7f800000, v2
	v_cmp_ne_u32_e32 vcc, s70, v3
                                        ; implicit-def: $vgpr21
	s_and_saveexec_b64 s[26:27], vcc
	s_xor_b64 s[26:27], exec, s[26:27]
; %bb.417:                              ;   in Loop: Header=BB8_49 Depth=1
	v_bfe_u32 v3, v2, 16, 1
	v_add3_u32 v21, v2, v3, s71
                                        ; implicit-def: $vgpr2_vgpr3
; %bb.418:                              ;   in Loop: Header=BB8_49 Depth=1
	s_andn2_saveexec_b64 s[26:27], s[26:27]
; %bb.419:                              ;   in Loop: Header=BB8_49 Depth=1
	v_or_b32_e32 v3, 0x10000, v2
	v_cmp_eq_u32_sdwa vcc, v2, v60 src0_sel:WORD_0 src1_sel:DWORD
	v_cndmask_b32_e32 v21, v3, v2, vcc
; %bb.420:                              ;   in Loop: Header=BB8_49 Depth=1
	s_or_b64 exec, exec, s[26:27]
	v_lshlrev_b32_e32 v2, 16, v4
	v_lshlrev_b32_e32 v6, 16, v20
	v_pk_add_f32 v[2:3], v[2:3], v[6:7] op_sel_hi:[0,1]
	v_and_b32_e32 v3, 0x7f800000, v2
	v_cmp_ne_u32_e32 vcc, s70, v3
                                        ; implicit-def: $vgpr5
	s_and_saveexec_b64 s[26:27], vcc
	s_xor_b64 s[26:27], exec, s[26:27]
; %bb.421:                              ;   in Loop: Header=BB8_49 Depth=1
	v_bfe_u32 v3, v2, 16, 1
	v_add3_u32 v5, v2, v3, s71
                                        ; implicit-def: $vgpr2_vgpr3
; %bb.422:                              ;   in Loop: Header=BB8_49 Depth=1
	s_andn2_saveexec_b64 s[26:27], s[26:27]
; %bb.423:                              ;   in Loop: Header=BB8_49 Depth=1
	v_or_b32_e32 v3, 0x10000, v2
	v_cmp_eq_u32_sdwa vcc, v2, v60 src0_sel:WORD_0 src1_sel:DWORD
	v_cndmask_b32_e32 v5, v3, v2, vcc
; %bb.424:                              ;   in Loop: Header=BB8_49 Depth=1
	s_or_b64 exec, exec, s[26:27]
	v_and_b32_e32 v2, 0xffff0000, v4
	v_and_b32_e32 v4, 0xffff0000, v20
	v_pk_add_f32 v[2:3], v[2:3], v[4:5] op_sel_hi:[0,1]
	v_and_b32_e32 v3, 0x7f800000, v2
	v_cmp_ne_u32_e32 vcc, s70, v3
                                        ; implicit-def: $vgpr4
	s_and_saveexec_b64 s[26:27], vcc
	s_xor_b64 s[26:27], exec, s[26:27]
; %bb.425:                              ;   in Loop: Header=BB8_49 Depth=1
	v_bfe_u32 v3, v2, 16, 1
	v_add3_u32 v4, v2, v3, s71
                                        ; implicit-def: $vgpr2_vgpr3
; %bb.426:                              ;   in Loop: Header=BB8_49 Depth=1
	s_andn2_saveexec_b64 s[26:27], s[26:27]
; %bb.427:                              ;   in Loop: Header=BB8_49 Depth=1
	v_or_b32_e32 v3, 0x10000, v2
	v_cmp_eq_u32_sdwa vcc, v2, v60 src0_sel:WORD_0 src1_sel:DWORD
	v_cndmask_b32_e32 v4, v3, v2, vcc
; %bb.428:                              ;   in Loop: Header=BB8_49 Depth=1
	s_or_b64 exec, exec, s[26:27]
	v_lshlrev_b32_e32 v2, 16, v12
	v_lshlrev_b32_e32 v6, 16, v11
	v_pk_add_f32 v[2:3], v[2:3], v[6:7] op_sel_hi:[0,1]
	v_and_b32_e32 v3, 0x7f800000, v2
	v_cmp_ne_u32_e32 vcc, s70, v3
                                        ; implicit-def: $vgpr6
	s_and_saveexec_b64 s[26:27], vcc
	s_xor_b64 s[26:27], exec, s[26:27]
; %bb.429:                              ;   in Loop: Header=BB8_49 Depth=1
	v_bfe_u32 v3, v2, 16, 1
	v_add3_u32 v6, v2, v3, s71
                                        ; implicit-def: $vgpr2_vgpr3
; %bb.430:                              ;   in Loop: Header=BB8_49 Depth=1
	s_andn2_saveexec_b64 s[26:27], s[26:27]
; %bb.431:                              ;   in Loop: Header=BB8_49 Depth=1
	v_or_b32_e32 v3, 0x10000, v2
	v_cmp_eq_u32_sdwa vcc, v2, v60 src0_sel:WORD_0 src1_sel:DWORD
	v_cndmask_b32_e32 v6, v3, v2, vcc
; %bb.432:                              ;   in Loop: Header=BB8_49 Depth=1
	s_or_b64 exec, exec, s[26:27]
	v_and_b32_e32 v2, 0xffff0000, v12
	v_and_b32_e32 v8, 0xffff0000, v11
	v_pk_add_f32 v[2:3], v[2:3], v[8:9] op_sel_hi:[0,1]
	v_and_b32_e32 v3, 0x7f800000, v2
	v_cmp_ne_u32_e32 vcc, s70, v3
                                        ; implicit-def: $vgpr7
	s_and_saveexec_b64 s[26:27], vcc
	s_xor_b64 s[26:27], exec, s[26:27]
; %bb.433:                              ;   in Loop: Header=BB8_49 Depth=1
	v_bfe_u32 v3, v2, 16, 1
	v_add3_u32 v7, v2, v3, s71
                                        ; implicit-def: $vgpr2_vgpr3
; %bb.434:                              ;   in Loop: Header=BB8_49 Depth=1
	s_andn2_saveexec_b64 s[26:27], s[26:27]
; %bb.435:                              ;   in Loop: Header=BB8_49 Depth=1
	v_or_b32_e32 v3, 0x10000, v2
	v_cmp_eq_u32_sdwa vcc, v2, v60 src0_sel:WORD_0 src1_sel:DWORD
	v_cndmask_b32_e32 v7, v3, v2, vcc
; %bb.436:                              ;   in Loop: Header=BB8_49 Depth=1
	s_or_b64 exec, exec, s[26:27]
	v_lshrrev_b32_e32 v2, 16, v19
	v_lshrrev_b32_e32 v5, 16, v5
	v_and_or_b32 v3, v21, s72, v2
	v_lshrrev_b32_e32 v2, 16, v10
	v_and_or_b32 v4, v4, s72, v5
	;; [unrolled: 2-line block ×3, first 2 shown]
	v_and_or_b32 v5, v7, s72, v5
	global_store_dwordx4 v[0:1], v[2:5], off glc slc
.LBB8_437:                              ;   in Loop: Header=BB8_49 Depth=1
	s_or_b64 exec, exec, s[24:25]
	v_accvgpr_read_b32 v0, a51
	v_and_b32_e32 v1, 14, v0
	v_cndmask_b32_e64 v0, v17, v1, s[22:23]
	v_mov_b32_e32 v3, v0
	v_cmp_ne_u32_e32 vcc, 0, v0
	s_mov_b64 s[24:25], 0
	v_mov_b32_e32 v19, 0
                                        ; implicit-def: $vgpr20
                                        ; implicit-def: $vgpr0
                                        ; implicit-def: $agpr52_agpr53
	s_and_saveexec_b64 s[26:27], vcc
	s_cbranch_execz .LBB8_439
; %bb.438:                              ;   in Loop: Header=BB8_49 Depth=1
	v_sub_u32_e32 v0, v17, v1
	v_cndmask_b32_e64 v0, 0, v0, s[22:23]
	v_cmp_lt_i32_e32 vcc, 0, v18
	v_add3_u32 v19, v16, v14, v0
	v_cndmask_b32_e32 v0, 0, v36, vcc
	v_sub_u32_e32 v0, v0, v18
	v_lshl_add_u32 v1, v0, 6, v15
	v_ashrrev_i32_e32 v0, 31, v1
	v_lshrrev_b32_e32 v0, 26, v0
	s_trap 2
	ds_read_b64 a[52:53], v0
	v_add_u32_e32 v2, v1, v0
	v_ashrrev_i32_e32 v0, 6, v2
	v_and_b32_e32 v2, 0xffffffc0, v2
	s_mov_b64 s[24:25], exec
	v_sub_u32_e32 v20, v1, v2
.LBB8_439:                              ;   in Loop: Header=BB8_49 Depth=1
	s_or_b64 exec, exec, s[26:27]
	s_and_b64 s[22:23], s[24:25], exec
.LBB8_440:                              ;   in Loop: Header=BB8_49 Depth=1
	s_or_b64 exec, exec, s[48:49]
	s_waitcnt lgkmcnt(0)
	v_accvgpr_read_b32 v6, a52
	v_mov_b32_e32 v58, 0x200
	v_mov_b32_e32 v59, 0x80
	v_accvgpr_read_b32 v61, a49
	v_accvgpr_read_b32 v5, a50
	;; [unrolled: 1-line block ×3, first 2 shown]
	s_and_saveexec_b64 s[26:27], s[22:23]
	s_cbranch_execz .LBB8_525
.LBB8_441:                              ;   in Loop: Header=BB8_49 Depth=1
	v_lshlrev_b32_e32 v1, 9, v0
	v_lshlrev_b32_e32 v2, 1, v20
	v_add3_u32 v10, v19, v2, v1
	v_ashrrev_i32_e32 v1, 31, v3
	v_lshrrev_b32_e32 v1, 23, v1
	v_add_u32_e32 v1, v3, v1
	v_ashrrev_i32_e32 v14, 9, v1
	v_ashrrev_i32_e32 v11, 31, v10
	v_sub_u32_e32 v12, v14, v0
	s_waitcnt lgkmcnt(0)
	v_add_co_u32_e32 v0, vcc, v6, v10
	v_accvgpr_write_b32 a23, v7
	v_addc_co_u32_e32 v1, vcc, v7, v11, vcc
	v_accvgpr_write_b32 a3, v3
	v_accvgpr_write_b32 a22, v6
	v_cmp_lt_i32_e32 vcc, 0, v12
	s_mov_b64 s[24:25], 0
	v_mov_b32_e32 v4, 0
	v_mov_b32_e32 v15, 0
	;; [unrolled: 1-line block ×8, first 2 shown]
	s_and_saveexec_b64 s[22:23], vcc
	s_cbranch_execz .LBB8_481
; %bb.442:                              ;   in Loop: Header=BB8_49 Depth=1
	s_trap 2
	ds_read_b128 v[2:5], v0
	s_mov_b64 s[50:51], 0
	s_mov_b64 s[48:49], 0
                                        ; implicit-def: $sgpr24_sgpr25
                                        ; implicit-def: $vgpr26
                                        ; implicit-def: $vgpr23
                                        ; implicit-def: $vgpr22
                                        ; implicit-def: $vgpr21
                                        ; implicit-def: $vgpr15
                                        ; implicit-def: $vgpr16
                                        ; implicit-def: $vgpr17
                                        ; implicit-def: $vgpr18
	s_waitcnt lgkmcnt(0)
	v_add_co_u32_e32 v2, vcc, v2, v10
	v_addc_co_u32_e32 v3, vcc, v3, v11, vcc
	v_add_co_u32_e32 v10, vcc, v4, v10
	v_addc_co_u32_e32 v11, vcc, v5, v11, vcc
	s_branch .LBB8_444
.LBB8_443:                              ;   in Loop: Header=BB8_444 Depth=2
	s_or_b64 exec, exec, s[52:53]
	flat_store_short_d16_hi v[0:1], v4 glc slc
	flat_store_short_d16_hi v[0:1], v5 offset:128 glc slc
	flat_store_short_d16_hi v[0:1], v6 offset:256 glc slc
	;; [unrolled: 1-line block ×3, first 2 shown]
	v_add_co_u32_e32 v4, vcc, v2, v40
	v_addc_co_u32_e32 v5, vcc, v3, v41, vcc
	v_add_co_u32_e32 v6, vcc, v10, v40
	v_addc_co_u32_e32 v7, vcc, v11, v41, vcc
	v_cndmask_b32_e64 v9, v58, v44, s[50:51]
	v_cndmask_b32_e64 v8, 0, v45, s[50:51]
	v_add_co_u32_e32 v0, vcc, v0, v9
	v_cndmask_b32_e64 v2, v2, v4, s[50:51]
	v_cndmask_b32_e64 v4, 0, v36, s[50:51]
	v_addc_co_u32_e32 v1, vcc, v1, v8, vcc
	v_sub_u32_e32 v12, v33, v4
	v_cmp_gt_i32_e32 vcc, 1, v12
	s_or_b64 s[48:49], vcc, s[48:49]
	s_andn2_b64 s[24:25], s[24:25], exec
	s_and_b64 vcc, s[50:51], exec
	v_cndmask_b32_e64 v3, v3, v5, s[50:51]
	v_cndmask_b32_e64 v11, v11, v7, s[50:51]
	;; [unrolled: 1-line block ×3, first 2 shown]
	s_or_b64 s[24:25], s[24:25], vcc
	s_andn2_b64 exec, exec, s[48:49]
	s_cbranch_execz .LBB8_480
.LBB8_444:                              ;   Parent Loop BB8_49 Depth=1
                                        ; =>  This Inner Loop Header: Depth=2
	flat_load_ushort v13, v[2:3] glc slc
	flat_load_ushort v29, v[2:3] offset:128 glc slc
	flat_load_ushort v27, v[2:3] offset:256 glc slc
	;; [unrolled: 1-line block ×3, first 2 shown]
	flat_load_ushort v32, v[10:11] glc slc
	flat_load_ushort v30, v[10:11] offset:128 glc slc
	flat_load_ushort v28, v[10:11] offset:256 glc slc
	;; [unrolled: 1-line block ×3, first 2 shown]
	s_and_saveexec_b64 s[52:53], s[50:51]
	s_cbranch_execz .LBB8_462
; %bb.445:                              ;   in Loop: Header=BB8_444 Depth=2
	v_lshlrev_b32_e32 v4, 16, v26
	v_lshlrev_b32_e32 v5, 16, v15
	v_add_f32_e32 v5, v4, v5
	v_and_b32_e32 v4, 0x7f800000, v5
	v_cmp_ne_u32_e32 vcc, s70, v4
                                        ; implicit-def: $vgpr4
	s_and_saveexec_b64 s[50:51], vcc
	s_xor_b64 vcc, exec, s[50:51]
; %bb.446:                              ;   in Loop: Header=BB8_444 Depth=2
	v_bfe_u32 v4, v5, 16, 1
	v_add3_u32 v4, v5, v4, s71
                                        ; implicit-def: $vgpr5
; %bb.447:                              ;   in Loop: Header=BB8_444 Depth=2
	s_andn2_saveexec_b64 s[50:51], vcc
; %bb.448:                              ;   in Loop: Header=BB8_444 Depth=2
	v_or_b32_e32 v4, 0x10000, v5
	v_cmp_eq_u32_sdwa vcc, v5, v60 src0_sel:WORD_0 src1_sel:DWORD
	v_cndmask_b32_e32 v4, v4, v5, vcc
; %bb.449:                              ;   in Loop: Header=BB8_444 Depth=2
	s_or_b64 exec, exec, s[50:51]
	v_lshlrev_b32_e32 v5, 16, v23
	v_lshlrev_b32_e32 v6, 16, v16
	v_add_f32_e32 v6, v5, v6
	v_and_b32_e32 v5, 0x7f800000, v6
	v_cmp_ne_u32_e32 vcc, s70, v5
                                        ; implicit-def: $vgpr5
	s_and_saveexec_b64 s[50:51], vcc
	s_xor_b64 vcc, exec, s[50:51]
; %bb.450:                              ;   in Loop: Header=BB8_444 Depth=2
	v_bfe_u32 v5, v6, 16, 1
	v_add3_u32 v5, v6, v5, s71
                                        ; implicit-def: $vgpr6
; %bb.451:                              ;   in Loop: Header=BB8_444 Depth=2
	s_andn2_saveexec_b64 s[50:51], vcc
; %bb.452:                              ;   in Loop: Header=BB8_444 Depth=2
	v_or_b32_e32 v5, 0x10000, v6
	v_cmp_eq_u32_sdwa vcc, v6, v60 src0_sel:WORD_0 src1_sel:DWORD
	v_cndmask_b32_e32 v5, v5, v6, vcc
; %bb.453:                              ;   in Loop: Header=BB8_444 Depth=2
	s_or_b64 exec, exec, s[50:51]
	v_lshlrev_b32_e32 v6, 16, v22
	v_lshlrev_b32_e32 v7, 16, v17
	v_add_f32_e32 v7, v6, v7
	v_and_b32_e32 v6, 0x7f800000, v7
	v_cmp_ne_u32_e32 vcc, s70, v6
                                        ; implicit-def: $vgpr6
	s_and_saveexec_b64 s[50:51], vcc
	s_xor_b64 vcc, exec, s[50:51]
; %bb.454:                              ;   in Loop: Header=BB8_444 Depth=2
	v_bfe_u32 v6, v7, 16, 1
	v_add3_u32 v6, v7, v6, s71
                                        ; implicit-def: $vgpr7
; %bb.455:                              ;   in Loop: Header=BB8_444 Depth=2
	s_andn2_saveexec_b64 s[50:51], vcc
; %bb.456:                              ;   in Loop: Header=BB8_444 Depth=2
	v_or_b32_e32 v6, 0x10000, v7
	v_cmp_eq_u32_sdwa vcc, v7, v60 src0_sel:WORD_0 src1_sel:DWORD
	v_cndmask_b32_e32 v6, v6, v7, vcc
; %bb.457:                              ;   in Loop: Header=BB8_444 Depth=2
	s_or_b64 exec, exec, s[50:51]
	v_lshlrev_b32_e32 v7, 16, v21
	v_lshlrev_b32_e32 v8, 16, v18
	v_add_f32_e32 v8, v7, v8
	v_and_b32_e32 v7, 0x7f800000, v8
	v_cmp_ne_u32_e32 vcc, s70, v7
                                        ; implicit-def: $vgpr7
	s_and_saveexec_b64 s[50:51], vcc
	s_xor_b64 vcc, exec, s[50:51]
; %bb.458:                              ;   in Loop: Header=BB8_444 Depth=2
	v_bfe_u32 v7, v8, 16, 1
	v_add3_u32 v7, v8, v7, s71
                                        ; implicit-def: $vgpr8
; %bb.459:                              ;   in Loop: Header=BB8_444 Depth=2
	s_andn2_saveexec_b64 s[50:51], vcc
; %bb.460:                              ;   in Loop: Header=BB8_444 Depth=2
	v_or_b32_e32 v7, 0x10000, v8
	v_cmp_eq_u32_sdwa vcc, v8, v60 src0_sel:WORD_0 src1_sel:DWORD
	v_cndmask_b32_e32 v7, v7, v8, vcc
; %bb.461:                              ;   in Loop: Header=BB8_444 Depth=2
	s_or_b64 exec, exec, s[50:51]
	v_lshrrev_b32_e32 v26, 16, v4
	v_lshrrev_b32_e32 v22, 16, v6
	;; [unrolled: 1-line block ×4, first 2 shown]
	flat_store_short v[0:1], v26 glc slc
	flat_store_short v[0:1], v23 offset:128 glc slc
	flat_store_short v[0:1], v22 offset:256 glc slc
	;; [unrolled: 1-line block ×3, first 2 shown]
	v_add_co_u32_e32 v0, vcc, v0, v44
	v_addc_co_u32_e32 v1, vcc, v1, v45, vcc
.LBB8_462:                              ;   in Loop: Header=BB8_444 Depth=2
	s_or_b64 exec, exec, s[52:53]
	v_add_co_u32_e32 v2, vcc, v2, v44
	v_addc_co_u32_e32 v3, vcc, v3, v45, vcc
	v_add_co_u32_e32 v10, vcc, v10, v44
	v_sub_u32_e32 v33, v12, v36
	v_addc_co_u32_e32 v11, vcc, v11, v45, vcc
	v_cmp_lt_i32_e64 s[50:51], 0, v33
	s_and_saveexec_b64 s[52:53], s[50:51]
	s_cbranch_execz .LBB8_464
; %bb.463:                              ;   in Loop: Header=BB8_444 Depth=2
	flat_load_ushort v26, v[2:3] glc slc
	flat_load_ushort v23, v[2:3] offset:128 glc slc
	flat_load_ushort v22, v[2:3] offset:256 glc slc
	;; [unrolled: 1-line block ×3, first 2 shown]
	flat_load_ushort v15, v[10:11] glc slc
	flat_load_ushort v16, v[10:11] offset:128 glc slc
	flat_load_ushort v17, v[10:11] offset:256 glc slc
	;; [unrolled: 1-line block ×3, first 2 shown]
	v_add_co_u32_e32 v2, vcc, 0x200, v2
	v_addc_co_u32_e32 v3, vcc, 0, v3, vcc
	v_add_co_u32_e32 v10, vcc, 0x200, v10
	v_addc_co_u32_e32 v11, vcc, 0, v11, vcc
.LBB8_464:                              ;   in Loop: Header=BB8_444 Depth=2
	s_or_b64 exec, exec, s[52:53]
	s_waitcnt vmcnt(0) lgkmcnt(0)
	v_lshlrev_b32_e32 v4, 16, v32
	v_lshlrev_b32_e32 v6, 16, v13
	v_pk_add_f32 v[12:13], v[4:5], v[6:7] op_sel_hi:[0,1]
	v_and_b32_e32 v4, 0x7f800000, v12
	v_cmp_ne_u32_e32 vcc, s70, v4
                                        ; implicit-def: $vgpr4
	s_and_saveexec_b64 s[52:53], vcc
	s_xor_b64 vcc, exec, s[52:53]
; %bb.465:                              ;   in Loop: Header=BB8_444 Depth=2
	v_bfe_u32 v4, v12, 16, 1
	v_add3_u32 v4, v12, v4, s71
                                        ; implicit-def: $vgpr12_vgpr13
; %bb.466:                              ;   in Loop: Header=BB8_444 Depth=2
	s_andn2_saveexec_b64 s[52:53], vcc
; %bb.467:                              ;   in Loop: Header=BB8_444 Depth=2
	v_or_b32_e32 v4, 0x10000, v12
	v_cmp_eq_u32_sdwa vcc, v12, v60 src0_sel:WORD_0 src1_sel:DWORD
	v_cndmask_b32_e32 v4, v4, v12, vcc
; %bb.468:                              ;   in Loop: Header=BB8_444 Depth=2
	s_or_b64 exec, exec, s[52:53]
	v_lshlrev_b32_e32 v6, 16, v30
	v_lshlrev_b32_e32 v8, 16, v29
	v_pk_add_f32 v[12:13], v[6:7], v[8:9] op_sel_hi:[0,1]
	v_and_b32_e32 v5, 0x7f800000, v12
	v_cmp_ne_u32_e32 vcc, s70, v5
                                        ; implicit-def: $vgpr5
	s_and_saveexec_b64 s[52:53], vcc
	s_xor_b64 vcc, exec, s[52:53]
; %bb.469:                              ;   in Loop: Header=BB8_444 Depth=2
	v_bfe_u32 v5, v12, 16, 1
	v_add3_u32 v5, v12, v5, s71
                                        ; implicit-def: $vgpr12_vgpr13
; %bb.470:                              ;   in Loop: Header=BB8_444 Depth=2
	s_andn2_saveexec_b64 s[52:53], vcc
; %bb.471:                              ;   in Loop: Header=BB8_444 Depth=2
	v_or_b32_e32 v5, 0x10000, v12
	v_cmp_eq_u32_sdwa vcc, v12, v60 src0_sel:WORD_0 src1_sel:DWORD
	v_cndmask_b32_e32 v5, v5, v12, vcc
; %bb.472:                              ;   in Loop: Header=BB8_444 Depth=2
	s_or_b64 exec, exec, s[52:53]
	v_lshlrev_b32_e32 v6, 16, v28
	v_lshlrev_b32_e32 v8, 16, v27
	v_pk_add_f32 v[12:13], v[6:7], v[8:9] op_sel_hi:[0,1]
	v_and_b32_e32 v6, 0x7f800000, v12
	v_cmp_ne_u32_e32 vcc, s70, v6
                                        ; implicit-def: $vgpr6
	s_and_saveexec_b64 s[52:53], vcc
	s_xor_b64 vcc, exec, s[52:53]
; %bb.473:                              ;   in Loop: Header=BB8_444 Depth=2
	v_bfe_u32 v6, v12, 16, 1
	v_add3_u32 v6, v12, v6, s71
                                        ; implicit-def: $vgpr12_vgpr13
; %bb.474:                              ;   in Loop: Header=BB8_444 Depth=2
	s_andn2_saveexec_b64 s[52:53], vcc
; %bb.475:                              ;   in Loop: Header=BB8_444 Depth=2
	v_or_b32_e32 v6, 0x10000, v12
	v_cmp_eq_u32_sdwa vcc, v12, v60 src0_sel:WORD_0 src1_sel:DWORD
	v_cndmask_b32_e32 v6, v6, v12, vcc
; %bb.476:                              ;   in Loop: Header=BB8_444 Depth=2
	s_or_b64 exec, exec, s[52:53]
	v_lshlrev_b32_e32 v8, 16, v25
	v_lshlrev_b32_e32 v12, 16, v24
	v_pk_add_f32 v[12:13], v[8:9], v[12:13] op_sel_hi:[0,1]
	v_and_b32_e32 v7, 0x7f800000, v12
	v_cmp_ne_u32_e32 vcc, s70, v7
                                        ; implicit-def: $vgpr7
	s_and_saveexec_b64 s[52:53], vcc
	s_xor_b64 vcc, exec, s[52:53]
; %bb.477:                              ;   in Loop: Header=BB8_444 Depth=2
	v_bfe_u32 v7, v12, 16, 1
	v_add3_u32 v7, v12, v7, s71
                                        ; implicit-def: $vgpr12_vgpr13
; %bb.478:                              ;   in Loop: Header=BB8_444 Depth=2
	s_andn2_saveexec_b64 s[52:53], vcc
	s_cbranch_execz .LBB8_443
; %bb.479:                              ;   in Loop: Header=BB8_444 Depth=2
	v_or_b32_e32 v7, 0x10000, v12
	v_cmp_eq_u32_sdwa vcc, v12, v60 src0_sel:WORD_0 src1_sel:DWORD
	v_cndmask_b32_e32 v7, v7, v12, vcc
	s_branch .LBB8_443
.LBB8_480:                              ;   in Loop: Header=BB8_49 Depth=1
	s_or_b64 exec, exec, s[48:49]
	v_lshlrev_b32_e32 v4, 16, v26
	v_lshlrev_b32_e32 v7, 16, v15
	;; [unrolled: 1-line block ×8, first 2 shown]
	s_and_b64 s[24:25], s[24:25], exec
	v_accvgpr_read_b32 v27, a43
	v_accvgpr_read_b32 v28, a46
	;; [unrolled: 1-line block ×3, first 2 shown]
.LBB8_481:                              ;   in Loop: Header=BB8_49 Depth=1
	s_or_b64 exec, exec, s[22:23]
	s_and_saveexec_b64 s[22:23], s[24:25]
	s_cbranch_execz .LBB8_499
; %bb.482:                              ;   in Loop: Header=BB8_49 Depth=1
	v_add_f32_e32 v7, v7, v4
	v_and_b32_e32 v4, 0x7f800000, v7
	v_cmp_ne_u32_e32 vcc, s70, v4
                                        ; implicit-def: $vgpr4
	s_and_saveexec_b64 s[24:25], vcc
	s_xor_b64 s[24:25], exec, s[24:25]
; %bb.483:                              ;   in Loop: Header=BB8_49 Depth=1
	v_bfe_u32 v4, v7, 16, 1
	v_add3_u32 v4, v7, v4, s71
                                        ; implicit-def: $vgpr7
; %bb.484:                              ;   in Loop: Header=BB8_49 Depth=1
	s_andn2_saveexec_b64 s[24:25], s[24:25]
; %bb.485:                              ;   in Loop: Header=BB8_49 Depth=1
	v_or_b32_e32 v4, 0x10000, v7
	v_cmp_eq_u32_sdwa vcc, v7, v60 src0_sel:WORD_0 src1_sel:DWORD
	v_cndmask_b32_e32 v4, v4, v7, vcc
; %bb.486:                              ;   in Loop: Header=BB8_49 Depth=1
	s_or_b64 exec, exec, s[24:25]
	v_add_f32_e32 v6, v6, v15
	v_and_b32_e32 v7, 0x7f800000, v6
	v_cmp_ne_u32_e32 vcc, s70, v7
                                        ; implicit-def: $vgpr10
	s_and_saveexec_b64 s[24:25], vcc
	s_xor_b64 s[24:25], exec, s[24:25]
; %bb.487:                              ;   in Loop: Header=BB8_49 Depth=1
	v_bfe_u32 v7, v6, 16, 1
	v_add3_u32 v10, v6, v7, s71
                                        ; implicit-def: $vgpr6
; %bb.488:                              ;   in Loop: Header=BB8_49 Depth=1
	s_andn2_saveexec_b64 s[24:25], s[24:25]
; %bb.489:                              ;   in Loop: Header=BB8_49 Depth=1
	v_or_b32_e32 v7, 0x10000, v6
	v_cmp_eq_u32_sdwa vcc, v6, v60 src0_sel:WORD_0 src1_sel:DWORD
	v_cndmask_b32_e32 v10, v7, v6, vcc
; %bb.490:                              ;   in Loop: Header=BB8_49 Depth=1
	s_or_b64 exec, exec, s[24:25]
	v_add_f32_e32 v6, v13, v5
	v_and_b32_e32 v5, 0x7f800000, v6
	v_cmp_ne_u32_e32 vcc, s70, v5
                                        ; implicit-def: $vgpr5
	s_and_saveexec_b64 s[24:25], vcc
	s_xor_b64 s[24:25], exec, s[24:25]
; %bb.491:                              ;   in Loop: Header=BB8_49 Depth=1
	v_bfe_u32 v5, v6, 16, 1
	v_add3_u32 v5, v6, v5, s71
                                        ; implicit-def: $vgpr6
; %bb.492:                              ;   in Loop: Header=BB8_49 Depth=1
	s_andn2_saveexec_b64 s[24:25], s[24:25]
; %bb.493:                              ;   in Loop: Header=BB8_49 Depth=1
	v_or_b32_e32 v5, 0x10000, v6
	v_cmp_eq_u32_sdwa vcc, v6, v60 src0_sel:WORD_0 src1_sel:DWORD
	v_cndmask_b32_e32 v5, v5, v6, vcc
; %bb.494:                              ;   in Loop: Header=BB8_49 Depth=1
	s_or_b64 exec, exec, s[24:25]
	v_add_f32_e32 v3, v3, v2
	v_and_b32_e32 v2, 0x7f800000, v3
	v_cmp_ne_u32_e32 vcc, s70, v2
                                        ; implicit-def: $vgpr2
	s_and_saveexec_b64 s[24:25], vcc
	s_xor_b64 s[24:25], exec, s[24:25]
; %bb.495:                              ;   in Loop: Header=BB8_49 Depth=1
	v_bfe_u32 v2, v3, 16, 1
	v_add3_u32 v2, v3, v2, s71
                                        ; implicit-def: $vgpr3
; %bb.496:                              ;   in Loop: Header=BB8_49 Depth=1
	s_andn2_saveexec_b64 s[24:25], s[24:25]
; %bb.497:                              ;   in Loop: Header=BB8_49 Depth=1
	v_or_b32_e32 v2, 0x10000, v3
	v_cmp_eq_u32_sdwa vcc, v3, v60 src0_sel:WORD_0 src1_sel:DWORD
	v_cndmask_b32_e32 v2, v2, v3, vcc
; %bb.498:                              ;   in Loop: Header=BB8_49 Depth=1
	s_or_b64 exec, exec, s[24:25]
	flat_store_short_d16_hi v[0:1], v4 glc slc
	flat_store_short_d16_hi v[0:1], v10 offset:128 glc slc
	flat_store_short_d16_hi v[0:1], v5 offset:256 glc slc
	;; [unrolled: 1-line block ×3, first 2 shown]
.LBB8_499:                              ;   in Loop: Header=BB8_49 Depth=1
	s_or_b64 exec, exec, s[22:23]
	v_lshlrev_b32_e32 v0, 9, v14
	v_accvgpr_read_b32 v4, a3
	v_cmp_ne_u32_e32 vcc, v4, v0
	v_accvgpr_read_b32 v6, a22
	s_and_b64 s[22:23], exec, vcc
	v_accvgpr_read_b32 v5, a50
	v_accvgpr_read_b32 v7, a23
	s_mov_b64 exec, s[22:23]
	s_cbranch_execz .LBB8_525
; %bb.500:                              ;   in Loop: Header=BB8_49 Depth=1
	v_lshlrev_b32_e32 v1, 6, v12
	v_sub_u32_e32 v1, v20, v1
	v_ashrrev_i32_e32 v2, 31, v1
	v_lshrrev_b32_e32 v2, 26, v2
	v_add_u32_e32 v2, v1, v2
	v_and_b32_e32 v3, 0x7fffffc0, v2
	v_sub_u32_e32 v1, v1, v3
	v_lshlrev_b32_e32 v2, 1, v2
	v_and_b32_e32 v2, 0xffffff80, v2
	v_lshlrev_b32_e32 v1, 1, v1
	v_add3_u32 v0, v2, v1, v0
	v_add_u32_e32 v2, v0, v19
	v_ashrrev_i32_e32 v1, 31, v2
	v_add_co_u32_e32 v12, vcc, v2, v6
	v_sub_u32_e32 v4, v4, v0
	v_addc_co_u32_e32 v13, vcc, v1, v7, vcc
	v_cmp_lt_i32_e32 vcc, 1, v4
	s_mov_b64 s[22:23], 0
	s_and_saveexec_b64 s[48:49], vcc
	s_cbranch_execz .LBB8_519
; %bb.501:                              ;   in Loop: Header=BB8_49 Depth=1
	s_trap 2
	ds_read_b128 v[6:9], v0
	s_mov_b64 s[54:55], 0
	s_mov_b64 s[50:51], 0
                                        ; implicit-def: $sgpr52_sgpr53
	s_waitcnt lgkmcnt(0)
	v_add_co_u32_e32 v0, vcc, v6, v2
	v_addc_co_u32_e32 v11, vcc, v7, v1, vcc
	v_add_co_u32_e32 v2, vcc, v8, v2
	v_addc_co_u32_e32 v3, vcc, v9, v1, vcc
	s_branch .LBB8_503
.LBB8_502:                              ;   in Loop: Header=BB8_503 Depth=2
	s_or_b64 exec, exec, s[22:23]
	v_lshrrev_b32_e32 v4, 16, v4
	v_accvgpr_read_b32 v6, a44
	buffer_store_short v4, off, s[0:3], s33 offset:160
	flat_store_short v[12:13], v4 glc slc
	v_add_co_u32_e32 v4, vcc, v0, v6
	v_accvgpr_read_b32 v7, a45
	v_addc_co_u32_e32 v5, vcc, v11, v7, vcc
	v_add_co_u32_e32 v6, vcc, v2, v6
	v_addc_co_u32_e32 v7, vcc, v3, v7, vcc
	v_cndmask_b32_e64 v9, v59, v28, s[54:55]
	v_cndmask_b32_e64 v8, 0, v29, s[54:55]
	v_add_co_u32_e32 v12, vcc, v12, v9
	v_cndmask_b32_e64 v0, v0, v4, s[54:55]
	v_cndmask_b32_e64 v4, 0, v27, s[54:55]
	v_addc_co_u32_e32 v13, vcc, v13, v8, vcc
	v_sub_u32_e32 v4, v1, v4
	v_cmp_gt_i32_e32 vcc, 2, v4
	s_or_b64 s[50:51], vcc, s[50:51]
	s_andn2_b64 s[22:23], s[52:53], exec
	s_and_b64 s[24:25], s[54:55], exec
	v_cndmask_b32_e64 v3, v3, v7, s[54:55]
	v_cndmask_b32_e64 v2, v2, v6, s[54:55]
	;; [unrolled: 1-line block ×3, first 2 shown]
	s_or_b64 s[52:53], s[22:23], s[24:25]
	v_accvgpr_read_b32 v5, a50
	s_andn2_b64 exec, exec, s[50:51]
	s_cbranch_execz .LBB8_518
.LBB8_503:                              ;   Parent Loop BB8_49 Depth=1
                                        ; =>  This Loop Header: Depth=2
                                        ;       Child Loop BB8_504 Depth 3
                                        ;       Child Loop BB8_513 Depth 3
	v_lshrrev_b32_e64 v1, 6, s33
	v_add_u32_e32 v1, 0xa0, v1
	s_mov_b64 s[56:57], -1
	s_mov_b64 s[58:59], 0
.LBB8_504:                              ;   Parent Loop BB8_49 Depth=1
                                        ;     Parent Loop BB8_503 Depth=2
                                        ; =>    This Inner Loop Header: Depth=3
	s_cmp_eq_u32 s58, 1
	s_cselect_b64 s[22:23], -1, 0
	v_cndmask_b32_e64 v7, v11, v3, s[22:23]
	v_cndmask_b32_e64 v6, v0, v2, s[22:23]
	flat_load_ushort v5, v[6:7] glc slc
	v_add_co_u32_e32 v6, vcc, 0x80, v6
	s_cmp_eq_u32 s58, 0
	v_addc_co_u32_e32 v7, vcc, 0, v7, vcc
	s_cselect_b64 vcc, -1, 0
	s_and_b64 s[24:25], exec, s[56:57]
	s_mov_b64 s[58:59], 1
	v_cndmask_b32_e64 v2, v2, v6, s[22:23]
	s_mov_b64 s[56:57], 0
	v_cndmask_b32_e64 v3, v3, v7, s[22:23]
	v_cndmask_b32_e32 v11, v11, v7, vcc
	v_cndmask_b32_e32 v0, v0, v6, vcc
	s_mov_b64 vcc, s[24:25]
	s_waitcnt vmcnt(0) lgkmcnt(0)
	buffer_store_short v5, v1, s[0:3], 0 offen
	v_lshrrev_b32_e64 v1, 6, s33
	v_add_u32_e32 v1, 0xc0, v1
	s_cbranch_vccnz .LBB8_504
; %bb.505:                              ;   in Loop: Header=BB8_503 Depth=2
	s_and_saveexec_b64 s[22:23], s[54:55]
	s_cbranch_execz .LBB8_511
; %bb.506:                              ;   in Loop: Header=BB8_503 Depth=2
	buffer_load_ushort v1, off, s[0:3], s33 offset:154
	buffer_load_ushort v5, off, s[0:3], s33 offset:152
	s_waitcnt vmcnt(1)
	v_lshlrev_b32_e32 v6, 16, v1
	s_waitcnt vmcnt(0)
	v_lshlrev_b32_e32 v8, 16, v5
	v_pk_add_f32 v[14:15], v[6:7], v[8:9] op_sel_hi:[0,1]
	v_and_b32_e32 v1, 0x7f800000, v14
	v_cmp_ne_u32_e32 vcc, s70, v1
                                        ; implicit-def: $vgpr1
	s_and_saveexec_b64 s[24:25], vcc
	s_xor_b64 s[24:25], exec, s[24:25]
; %bb.507:                              ;   in Loop: Header=BB8_503 Depth=2
	v_bfe_u32 v1, v14, 16, 1
	v_add3_u32 v1, v14, v1, s71
                                        ; implicit-def: $vgpr14_vgpr15
; %bb.508:                              ;   in Loop: Header=BB8_503 Depth=2
	s_andn2_saveexec_b64 s[24:25], s[24:25]
; %bb.509:                              ;   in Loop: Header=BB8_503 Depth=2
	v_or_b32_e32 v1, 0x10000, v14
	v_cmp_eq_u32_sdwa vcc, v14, v60 src0_sel:WORD_0 src1_sel:DWORD
	v_cndmask_b32_e32 v1, v1, v14, vcc
; %bb.510:                              ;   in Loop: Header=BB8_503 Depth=2
	s_or_b64 exec, exec, s[24:25]
	v_lshrrev_b32_e32 v1, 16, v1
	flat_store_short v[12:13], v1 glc slc
	v_add_co_u32_e32 v12, vcc, v12, v28
	v_addc_co_u32_e32 v13, vcc, v13, v29, vcc
	buffer_store_short v1, off, s[0:3], s33 offset:152
.LBB8_511:                              ;   in Loop: Header=BB8_503 Depth=2
	s_or_b64 exec, exec, s[22:23]
	v_accvgpr_read_b32 v6, a44
	v_add_co_u32_e32 v0, vcc, v0, v6
	v_accvgpr_read_b32 v1, a45
	v_addc_co_u32_e32 v11, vcc, v11, v1, vcc
	v_add_co_u32_e32 v2, vcc, v2, v6
	v_addc_co_u32_e32 v3, vcc, v3, v1, vcc
	v_sub_u32_e32 v1, v4, v27
	v_cmp_lt_i32_e64 s[54:55], 1, v1
	s_and_saveexec_b64 s[56:57], s[54:55]
	s_cbranch_execz .LBB8_514
; %bb.512:                              ;   in Loop: Header=BB8_503 Depth=2
	v_lshrrev_b32_e64 v4, 6, s33
	v_add_u32_e32 v4, 0x98, v4
	s_mov_b64 s[60:61], 0
	s_mov_b64 s[58:59], -1
.LBB8_513:                              ;   Parent Loop BB8_49 Depth=1
                                        ;     Parent Loop BB8_503 Depth=2
                                        ; =>    This Inner Loop Header: Depth=3
	s_cmp_eq_u32 s60, 1
	s_cselect_b64 s[22:23], -1, 0
	v_cndmask_b32_e64 v7, v11, v3, s[22:23]
	v_cndmask_b32_e64 v6, v0, v2, s[22:23]
	flat_load_ushort v5, v[6:7] glc slc
	v_add_co_u32_e32 v6, vcc, 0x80, v6
	s_cmp_eq_u32 s60, 0
	v_addc_co_u32_e32 v7, vcc, 0, v7, vcc
	s_cselect_b64 vcc, -1, 0
	s_and_b64 s[24:25], exec, s[58:59]
	s_mov_b64 s[60:61], 1
	v_cndmask_b32_e64 v2, v2, v6, s[22:23]
	s_mov_b64 s[58:59], 0
	v_cndmask_b32_e32 v11, v11, v7, vcc
	v_cndmask_b32_e32 v0, v0, v6, vcc
	v_cndmask_b32_e64 v3, v3, v7, s[22:23]
	s_mov_b64 vcc, s[24:25]
	s_waitcnt vmcnt(0) lgkmcnt(0)
	buffer_store_short v5, v4, s[0:3], 0 offen
	v_lshrrev_b32_e64 v4, 6, s33
	v_add_u32_e32 v4, 0x9a, v4
	s_cbranch_vccnz .LBB8_513
.LBB8_514:                              ;   in Loop: Header=BB8_503 Depth=2
	s_or_b64 exec, exec, s[56:57]
	buffer_load_ushort v4, off, s[0:3], s33 offset:192
	buffer_load_ushort v5, off, s[0:3], s33 offset:160
	s_waitcnt vmcnt(0)
	v_lshlrev_b32_e32 v4, 16, v4
	v_lshlrev_b32_e32 v6, 16, v5
	v_pk_add_f32 v[14:15], v[4:5], v[6:7] op_sel_hi:[0,1]
	v_and_b32_e32 v4, 0x7f800000, v14
	v_cmp_ne_u32_e32 vcc, s70, v4
                                        ; implicit-def: $vgpr4
	s_and_saveexec_b64 s[22:23], vcc
	s_xor_b64 s[22:23], exec, s[22:23]
; %bb.515:                              ;   in Loop: Header=BB8_503 Depth=2
	v_bfe_u32 v4, v14, 16, 1
	v_add3_u32 v4, v14, v4, s71
                                        ; implicit-def: $vgpr14_vgpr15
; %bb.516:                              ;   in Loop: Header=BB8_503 Depth=2
	s_andn2_saveexec_b64 s[22:23], s[22:23]
	s_cbranch_execz .LBB8_502
; %bb.517:                              ;   in Loop: Header=BB8_503 Depth=2
	v_or_b32_e32 v4, 0x10000, v14
	v_cmp_eq_u32_sdwa vcc, v14, v60 src0_sel:WORD_0 src1_sel:DWORD
	v_cndmask_b32_e32 v4, v4, v14, vcc
	s_branch .LBB8_502
.LBB8_518:                              ;   in Loop: Header=BB8_49 Depth=1
	s_or_b64 exec, exec, s[50:51]
	s_and_b64 s[22:23], s[52:53], exec
.LBB8_519:                              ;   in Loop: Header=BB8_49 Depth=1
	s_or_b64 exec, exec, s[48:49]
	s_and_b64 exec, exec, s[22:23]
	s_cbranch_execz .LBB8_525
; %bb.520:                              ;   in Loop: Header=BB8_49 Depth=1
	buffer_load_ushort v0, off, s[0:3], s33 offset:154
	buffer_load_ushort v1, off, s[0:3], s33 offset:152
	s_waitcnt vmcnt(0)
	v_lshlrev_b32_e32 v0, 16, v0
	v_lshlrev_b32_e32 v2, 16, v1
	v_pk_add_f32 v[0:1], v[0:1], v[2:3] op_sel_hi:[0,1]
	v_and_b32_e32 v1, 0x7f800000, v0
	v_cmp_ne_u32_e32 vcc, s70, v1
                                        ; implicit-def: $vgpr2
	s_and_saveexec_b64 s[22:23], vcc
	s_xor_b64 s[22:23], exec, s[22:23]
; %bb.521:                              ;   in Loop: Header=BB8_49 Depth=1
	v_bfe_u32 v1, v0, 16, 1
	v_add3_u32 v2, v0, v1, s71
                                        ; implicit-def: $vgpr0_vgpr1
; %bb.522:                              ;   in Loop: Header=BB8_49 Depth=1
	s_andn2_saveexec_b64 s[22:23], s[22:23]
; %bb.523:                              ;   in Loop: Header=BB8_49 Depth=1
	v_or_b32_e32 v1, 0x10000, v0
	v_cmp_eq_u32_sdwa vcc, v0, v60 src0_sel:WORD_0 src1_sel:DWORD
	v_cndmask_b32_e32 v2, v1, v0, vcc
; %bb.524:                              ;   in Loop: Header=BB8_49 Depth=1
	s_or_b64 exec, exec, s[22:23]
	flat_store_short_d16_hi v[12:13], v2 glc slc
.LBB8_525:                              ;   in Loop: Header=BB8_49 Depth=1
	s_or_b64 exec, exec, s[26:27]
	v_cmp_ne_u32_e64 s[22:23], 0, v5
.LBB8_526:                              ;   in Loop: Header=BB8_49 Depth=1
	s_and_saveexec_b64 s[24:25], s[12:13]
	s_cbranch_execz .LBB8_545
; %bb.527:                              ;   in Loop: Header=BB8_49 Depth=1
	s_and_saveexec_b64 s[26:27], s[38:39]
	s_xor_b64 s[26:27], exec, s[26:27]
	s_cbranch_execz .LBB8_542
; %bb.528:                              ;   in Loop: Header=BB8_49 Depth=1
	s_and_saveexec_b64 s[48:49], s[14:15]
	s_cbranch_execz .LBB8_541
; %bb.529:                              ;   in Loop: Header=BB8_49 Depth=1
	s_mov_b64 s[52:53], exec
	v_mbcnt_lo_u32_b32 v0, s52, 0
	v_mbcnt_hi_u32_b32 v0, s53, v0
	v_cmp_eq_u32_e32 vcc, 0, v0
	s_waitcnt vmcnt(0) lgkmcnt(0)
	buffer_wbinvl1_vol
	s_and_saveexec_b64 s[50:51], vcc
	s_cbranch_execz .LBB8_531
; %bb.530:                              ;   in Loop: Header=BB8_49 Depth=1
	s_bcnt1_i32_b64 vcc_lo, s[52:53]
	v_mov_b32_e32 v0, vcc_lo
	v_mov_b32_e32 v1, v60
	ds_add_u64 v0, v[0:1]
	s_trap 2
.LBB8_531:                              ;   in Loop: Header=BB8_49 Depth=1
	s_or_b64 exec, exec, s[50:51]
	s_trap 2
	ds_read_b64 v[0:1], v0
	v_accvgpr_read_b32 v2, a20
	v_accvgpr_read_b32 v3, a21
	v_add_co_u32_e32 v2, vcc, v2, v36
	v_addc_co_u32_e32 v3, vcc, 0, v3, vcc
	v_accvgpr_write_b32 a21, v3
	v_accvgpr_write_b32 a20, v2
	s_waitcnt lgkmcnt(0)
	v_cmp_lt_u64_e32 vcc, v[0:1], v[2:3]
	s_and_saveexec_b64 s[50:51], vcc
	s_cbranch_execz .LBB8_540
; %bb.532:                              ;   in Loop: Header=BB8_49 Depth=1
	s_mov_b32 s62, 0
	s_mov_b64 s[52:53], 0
                                        ; implicit-def: $sgpr54_sgpr55
                                        ; implicit-def: $sgpr56_sgpr57
	s_branch .LBB8_534
.LBB8_533:                              ;   in Loop: Header=BB8_534 Depth=2
	s_or_b64 exec, exec, s[60:61]
	s_and_b64 vcc, exec, vcc
	s_or_b64 s[52:53], vcc, s[52:53]
	s_andn2_b64 vcc, s[54:55], exec
	s_and_b64 s[54:55], s[56:57], exec
	s_or_b64 s[54:55], vcc, s[54:55]
	s_andn2_b64 exec, exec, s[52:53]
	s_cbranch_execz .LBB8_538
.LBB8_534:                              ;   Parent Loop BB8_49 Depth=1
                                        ; =>  This Inner Loop Header: Depth=2
	s_add_i32 s62, s62, 1
	s_cmpk_lg_i32 s62, 0x2710
	s_cselect_b64 s[58:59], -1, 0
	s_and_b64 vcc, exec, s[58:59]
                                        ; implicit-def: $sgpr60_sgpr61
	s_cbranch_vccnz .LBB8_536
; %bb.535:                              ;   in Loop: Header=BB8_534 Depth=2
	s_trap 2
	ds_read_b64 v[0:1], v0
	s_andn2_b64 s[58:59], s[58:59], exec
	s_mov_b32 s62, 0
	s_mov_b64 s[60:61], -1
	s_waitcnt lgkmcnt(0)
	flat_load_dword v0, v[0:1] glc
	s_waitcnt vmcnt(0) lgkmcnt(0)
	buffer_invl2
	buffer_wbinvl1_vol
	v_cmp_eq_u32_e32 vcc, 0, v0
	s_and_b64 vcc, vcc, exec
	s_or_b64 s[58:59], s[58:59], vcc
.LBB8_536:                              ;   in Loop: Header=BB8_534 Depth=2
	s_andn2_b64 s[56:57], s[56:57], exec
	s_and_b64 s[60:61], s[60:61], exec
	s_mov_b64 vcc, -1
	s_or_b64 s[56:57], s[56:57], s[60:61]
	s_and_saveexec_b64 s[60:61], s[58:59]
	s_cbranch_execz .LBB8_533
; %bb.537:                              ;   in Loop: Header=BB8_534 Depth=2
	s_sleep 1
	s_trap 2
	ds_read_b64 v[0:1], v0
	v_accvgpr_read_b32 v2, a20
	v_accvgpr_read_b32 v3, a21
	s_andn2_b64 s[56:57], s[56:57], exec
	s_waitcnt lgkmcnt(0)
	v_cmp_ge_u64_e32 vcc, v[0:1], v[2:3]
	s_orn2_b64 vcc, vcc, exec
	s_branch .LBB8_533
.LBB8_538:                              ;   in Loop: Header=BB8_49 Depth=1
	s_or_b64 exec, exec, s[52:53]
	s_and_saveexec_b64 vcc, s[54:55]
	s_xor_b64 vcc, exec, vcc
	s_cbranch_execz .LBB8_540
; %bb.539:                              ;   in Loop: Header=BB8_49 Depth=1
	v_mov_b32_e32 v0, 1
	ds_write_b32 v0, v0
	s_trap 2
.LBB8_540:                              ;   in Loop: Header=BB8_49 Depth=1
	s_or_b64 exec, exec, s[50:51]
	;;#ASMSTART
	s_wakeup
	;;#ASMEND
.LBB8_541:                              ;   in Loop: Header=BB8_49 Depth=1
	s_or_b64 exec, exec, s[48:49]
.LBB8_542:                              ;   in Loop: Header=BB8_49 Depth=1
	s_andn2_saveexec_b64 s[26:27], s[26:27]
	s_cbranch_execz .LBB8_544
; %bb.543:                              ;   in Loop: Header=BB8_49 Depth=1
	s_waitcnt vmcnt(0) lgkmcnt(0)
	buffer_wbinvl1_vol
	s_barrier
.LBB8_544:                              ;   in Loop: Header=BB8_49 Depth=1
	s_or_b64 exec, exec, s[26:27]
.LBB8_545:                              ;   in Loop: Header=BB8_49 Depth=1
	s_or_b64 exec, exec, s[24:25]
	v_and_b32_e32 v0, 16, v62
	v_cmp_ne_u32_e32 vcc, 0, v0
	s_and_b64 s[24:25], vcc, s[22:23]
	s_and_saveexec_b64 s[22:23], s[24:25]
	s_cbranch_execz .LBB8_547
; %bb.546:                              ;   in Loop: Header=BB8_49 Depth=1
	s_waitcnt vmcnt(0) lgkmcnt(0)
	buffer_wbinvl1_vol
.LBB8_547:                              ;   in Loop: Header=BB8_49 Depth=1
	s_or_b64 exec, exec, s[22:23]
	v_cmp_ne_u32_e32 vcc, 0, v0
	s_xor_b64 s[22:23], s[20:21], -1
	s_and_b64 s[24:25], vcc, s[22:23]
	s_and_saveexec_b64 s[22:23], s[24:25]
	s_cbranch_execz .LBB8_549
; %bb.548:                              ;   in Loop: Header=BB8_49 Depth=1
	v_accvgpr_read_b32 v0, a24
	v_accvgpr_read_b32 v1, a25
	v_mov_b32_e32 v2, 1
	flat_store_dword v[0:1], v2
.LBB8_549:                              ;   in Loop: Header=BB8_49 Depth=1
	s_or_b64 exec, exec, s[22:23]
	v_and_b32_e32 v0, 48, v62
	v_cmp_ne_u32_e32 vcc, 0, v0
	s_and_saveexec_b64 s[22:23], vcc
	s_cbranch_execz .LBB8_551
; %bb.550:                              ;   in Loop: Header=BB8_49 Depth=1
	v_accvgpr_read_b32 v0, a12
	v_accvgpr_read_b32 v2, a14
	;; [unrolled: 1-line block ×3, first 2 shown]
	v_add_co_u32_e32 v2, vcc, 1, v2
	v_addc_co_u32_e32 v3, vcc, 0, v3, vcc
	v_accvgpr_read_b32 v1, a13
	v_accvgpr_write_b32 a15, v3
	v_accvgpr_write_b32 a14, v2
	v_accvgpr_write_b32 a13, v1
	v_accvgpr_write_b32 a12, v0
	flat_store_dwordx2 v[42:43], v[2:3]
.LBB8_551:                              ;   in Loop: Header=BB8_49 Depth=1
	s_or_b64 exec, exec, s[22:23]
	v_mov_b32_e32 v1, v61
.LBB8_552:                              ;   in Loop: Header=BB8_49 Depth=1
	s_or_b64 exec, exec, s[46:47]
	s_and_saveexec_b64 s[24:25], s[44:45]
	s_cbranch_execz .LBB8_48
; %bb.553:                              ;   in Loop: Header=BB8_49 Depth=1
	v_and_b32_e32 v0, 12, v62
	v_cmp_ne_u32_e32 vcc, 0, v0
	s_mov_b64 s[26:27], -1
	s_and_saveexec_b64 s[22:23], vcc
	s_cbranch_execz .LBB8_565
; %bb.554:                              ;   in Loop: Header=BB8_49 Depth=1
	v_and_b32_e32 v0, 8, v62
	v_add_co_u32_e32 v4, vcc, v46, v0
	s_waitcnt lgkmcnt(0)
	v_accvgpr_read_b32 v6, a12
	v_addc_co_u32_e32 v5, vcc, 0, v47, vcc
	v_accvgpr_read_b32 v8, a14
	v_accvgpr_read_b32 v9, a15
	v_add_co_u32_e32 v2, vcc, 1, v8
	v_addc_co_u32_e32 v3, vcc, 0, v9, vcc
	v_cmp_lt_u64_e32 vcc, v[4:5], v[2:3]
	v_mov_b32_e32 v4, 1
	v_accvgpr_read_b32 v7, a13
	s_and_saveexec_b64 s[26:27], vcc
	s_cbranch_execz .LBB8_564
; %bb.555:                              ;   in Loop: Header=BB8_49 Depth=1
	s_mov_b64 s[44:45], 0
	v_mov_b32_e32 v4, 0
                                        ; implicit-def: $sgpr46_sgpr47
	s_branch .LBB8_559
.LBB8_556:                              ;   in Loop: Header=BB8_559 Depth=2
	s_or_b64 exec, exec, s[54:55]
	v_mov_b32_e32 v5, 0
	s_orn2_b64 s[52:53], s[52:53], exec
.LBB8_557:                              ;   in Loop: Header=BB8_559 Depth=2
	s_or_b64 exec, exec, s[50:51]
	s_andn2_b64 vcc, s[46:47], exec
	s_and_b64 s[46:47], s[52:53], exec
	s_or_b64 s[46:47], vcc, s[46:47]
	v_mov_b32_e32 v4, v5
.LBB8_558:                              ;   in Loop: Header=BB8_559 Depth=2
	s_or_b64 exec, exec, s[48:49]
	s_waitcnt vmcnt(0) lgkmcnt(0)
	v_add_co_u32_e32 v6, vcc, v46, v0
	v_addc_co_u32_e32 v7, vcc, 0, v47, vcc
	v_cmp_ge_u64_e32 vcc, v[6:7], v[2:3]
	s_xor_b64 s[48:49], s[46:47], -1
	s_or_b64 vcc, s[48:49], vcc
	s_and_b64 vcc, exec, vcc
	s_or_b64 s[44:45], vcc, s[44:45]
	s_andn2_b64 exec, exec, s[44:45]
	s_cbranch_execz .LBB8_563
.LBB8_559:                              ;   Parent Loop BB8_49 Depth=1
                                        ; =>  This Inner Loop Header: Depth=2
	s_sleep 1
	flat_load_dwordx2 v[46:47], v[42:43] glc
	v_and_b32_e32 v5, 64, v62
	v_cmp_eq_u32_e32 vcc, 0, v5
	s_andn2_b64 s[46:47], s[46:47], exec
	s_and_saveexec_b64 s[48:49], vcc
	s_cbranch_execz .LBB8_558
; %bb.560:                              ;   in Loop: Header=BB8_559 Depth=2
	v_add_u32_e32 v5, 1, v4
	v_cmp_lt_i32_e32 vcc, s68, v4
	s_mov_b64 s[52:53], -1
	s_and_saveexec_b64 s[50:51], vcc
	s_cbranch_execz .LBB8_557
; %bb.561:                              ;   in Loop: Header=BB8_559 Depth=2
	s_trap 2
	ds_read_b64 v[4:5], v0
	s_waitcnt vmcnt(0) lgkmcnt(0)
	flat_load_dword v4, v[4:5] glc
	s_waitcnt vmcnt(0) lgkmcnt(0)
	buffer_invl2
	buffer_wbinvl1_vol
	v_cmp_ne_u32_e32 vcc, 0, v4
	s_and_saveexec_b64 s[54:55], vcc
	s_cbranch_execz .LBB8_556
; %bb.562:                              ;   in Loop: Header=BB8_559 Depth=2
	v_or_b32_e32 v62, 64, v62
	s_xor_b64 s[52:53], exec, -1
	ds_write_b32 v0, v4
	s_trap 2
	s_branch .LBB8_556
.LBB8_563:                              ;   in Loop: Header=BB8_49 Depth=1
	s_or_b64 exec, exec, s[44:45]
	v_and_b32_e32 v4, 12, v62
.LBB8_564:                              ;   in Loop: Header=BB8_49 Depth=1
	s_or_b64 exec, exec, s[26:27]
	v_cmp_eq_u32_e32 vcc, 0, v4
	s_orn2_b64 s[26:27], vcc, exec
	;;#ASMSTART
	s_wakeup
	;;#ASMEND
.LBB8_565:                              ;   in Loop: Header=BB8_49 Depth=1
	s_or_b64 exec, exec, s[22:23]
	v_accvgpr_read_b32 v0, a48
	v_sub_u32_e32 v0, v0, v1
	s_xor_b64 s[22:23], s[26:27], -1
	v_min_i32_e32 v0, v61, v0
	s_and_saveexec_b64 s[26:27], s[22:23]
	s_cbranch_execz .LBB8_579
; %bb.566:                              ;   in Loop: Header=BB8_49 Depth=1
	v_accvgpr_read_b32 v2, a12
	v_and_b32_e32 v1, 0x108, v62
	v_accvgpr_read_b32 v4, a14
	v_cmp_ne_u32_e32 vcc, s69, v1
	v_and_b32_e32 v2, 7, v4
	v_accvgpr_read_b32 v3, a13
	v_accvgpr_read_b32 v5, a15
	s_and_saveexec_b64 s[22:23], vcc
	s_xor_b64 s[22:23], exec, s[22:23]
                                        ; implicit-def: $vgpr10_vgpr11
; %bb.567:                              ;   in Loop: Header=BB8_49 Depth=1
	v_mov_b32_e32 v11, v60
; %bb.568:                              ;   in Loop: Header=BB8_49 Depth=1
	s_andn2_saveexec_b64 s[22:23], s[22:23]
	s_cbranch_execz .LBB8_570
; %bb.569:                              ;   in Loop: Header=BB8_49 Depth=1
	s_waitcnt lgkmcnt(0)
	v_accvgpr_read_b32 v4, a12
	v_accvgpr_read_b32 v5, a13
	v_accvgpr_read_b32 v6, a14
	v_accvgpr_read_b32 v7, a15
	v_ashrrev_i32_e32 v1, 31, v0
	v_mov_b32_e32 v11, v60
	v_mad_u64_u32 v[4:5], vcc, v2, 24, v[4:5]
	v_lshlrev_b64 v[6:7], 1, v[0:1]
	flat_store_dwordx2 v[4:5], v[6:7] offset:8
.LBB8_570:                              ;   in Loop: Header=BB8_49 Depth=1
	s_or_b64 exec, exec, s[22:23]
	v_and_b32_e32 v1, 0x100, v62
	v_cmp_ne_u32_e32 vcc, 0, v1
	s_mov_b64 s[22:23], -1
                                        ; implicit-def: $vgpr12_vgpr13
	s_and_saveexec_b64 s[44:45], vcc
	s_cbranch_execz .LBB8_574
; %bb.571:                              ;   in Loop: Header=BB8_49 Depth=1
	s_waitcnt lgkmcnt(0)
	v_accvgpr_read_b32 v4, a12
	v_accvgpr_read_b32 v5, a13
	v_mad_u64_u32 v[14:15], s[22:23], v2, 24, v[4:5]
	v_mov_b32_e32 v4, v15
	v_mad_u64_u32 v[4:5], s[22:23], v11, 24, v[4:5]
	v_mov_b32_e32 v15, v4
	flat_load_dword v1, v[14:15]
	v_accvgpr_read_b32 v6, a14
	v_accvgpr_read_b32 v7, a15
                                        ; implicit-def: $vgpr12_vgpr13
	s_waitcnt vmcnt(0) lgkmcnt(0)
	v_cmp_ne_u32_e32 vcc, 1, v1
	v_cmp_eq_u32_e64 s[22:23], 1, v1
	s_and_saveexec_b64 s[46:47], s[22:23]
	s_cbranch_execz .LBB8_573
; %bb.572:                              ;   in Loop: Header=BB8_49 Depth=1
	flat_load_dword v4, v[14:15] offset:4 glc
	s_waitcnt vmcnt(0) lgkmcnt(0)
	v_ashrrev_i32_e32 v5, 31, v4
	v_lshrrev_b64 v[12:13], 1, v[4:5]
.LBB8_573:                              ;   in Loop: Header=BB8_49 Depth=1
	s_or_b64 exec, exec, s[46:47]
	s_orn2_b64 s[22:23], vcc, exec
.LBB8_574:                              ;   in Loop: Header=BB8_49 Depth=1
	s_or_b64 exec, exec, s[44:45]
	s_and_saveexec_b64 vcc, s[22:23]
; %bb.575:                              ;   in Loop: Header=BB8_49 Depth=1
	v_accvgpr_read_b32 v4, a16
	v_mul_lo_u32 v1, v11, v4
	v_mul_lo_u32 v3, v2, v37
	v_mad_u64_u32 v[12:13], s[22:23], v2, v4, 0
	v_add3_u32 v13, v13, v3, v1
; %bb.576:                              ;   in Loop: Header=BB8_49 Depth=1
	s_or_b64 exec, exec, vcc
	v_lshlrev_b64 v[2:3], 1, v[12:13]
	v_accvgpr_read_b32 v4, a18
	v_accvgpr_read_b32 v5, a19
	v_add_co_u32_e32 v2, vcc, v4, v2
	v_addc_co_u32_e32 v3, vcc, v5, v3, vcc
	v_and_b32_e32 v1, 0x2000, v62
	v_cmp_ne_u32_e32 vcc, 0, v1
	s_trap 2
	ds_write_b64 v0, v[2:3]
	s_and_saveexec_b64 s[22:23], vcc
	s_cbranch_execz .LBB8_578
; %bb.577:                              ;   in Loop: Header=BB8_49 Depth=1
	ds_read_b64 v[2:3], v0 offset:584
	s_waitcnt lgkmcnt(0)
	v_add_co_u32_e32 v2, vcc, 1, v2
	v_addc_co_u32_e32 v3, vcc, 0, v3, vcc
	ds_write_b64 v0, v[2:3] offset:584
.LBB8_578:                              ;   in Loop: Header=BB8_49 Depth=1
	s_or_b64 exec, exec, s[22:23]
	v_accvgpr_read_b32 v2, a12
	v_accvgpr_read_b32 v4, a14
	v_accvgpr_read_b32 v5, a15
	v_add_co_u32_e32 v4, vcc, 1, v4
	v_addc_co_u32_e32 v5, vcc, 0, v5, vcc
	v_accvgpr_read_b32 v3, a13
	v_accvgpr_write_b32 a15, v5
	v_accvgpr_write_b32 a14, v4
	;; [unrolled: 1-line block ×4, first 2 shown]
.LBB8_579:                              ;   in Loop: Header=BB8_49 Depth=1
	s_or_b64 exec, exec, s[26:27]
	s_and_saveexec_b64 s[22:23], s[12:13]
	s_cbranch_execz .LBB8_598
; %bb.580:                              ;   in Loop: Header=BB8_49 Depth=1
	s_and_saveexec_b64 s[26:27], s[38:39]
	s_xor_b64 s[26:27], exec, s[26:27]
	s_cbranch_execz .LBB8_595
; %bb.581:                              ;   in Loop: Header=BB8_49 Depth=1
	s_and_saveexec_b64 s[44:45], s[14:15]
	s_cbranch_execz .LBB8_594
; %bb.582:                              ;   in Loop: Header=BB8_49 Depth=1
	s_mov_b64 s[48:49], exec
	v_mbcnt_lo_u32_b32 v1, s48, 0
	v_mbcnt_hi_u32_b32 v1, s49, v1
	v_cmp_eq_u32_e32 vcc, 0, v1
	s_waitcnt vmcnt(0) lgkmcnt(0)
	buffer_wbinvl1_vol
	s_and_saveexec_b64 s[46:47], vcc
	s_cbranch_execz .LBB8_584
; %bb.583:                              ;   in Loop: Header=BB8_49 Depth=1
	s_bcnt1_i32_b64 vcc_lo, s[48:49]
	v_mov_b32_e32 v2, vcc_lo
	v_mov_b32_e32 v3, v60
	ds_add_u64 v0, v[2:3]
	s_trap 2
.LBB8_584:                              ;   in Loop: Header=BB8_49 Depth=1
	s_or_b64 exec, exec, s[46:47]
	s_trap 2
	ds_read_b64 v[2:3], v0
	v_accvgpr_read_b32 v4, a20
	v_accvgpr_read_b32 v5, a21
	v_add_co_u32_e32 v4, vcc, v4, v36
	v_addc_co_u32_e32 v5, vcc, 0, v5, vcc
	v_accvgpr_write_b32 a21, v5
	v_accvgpr_write_b32 a20, v4
	s_waitcnt lgkmcnt(0)
	v_cmp_lt_u64_e32 vcc, v[2:3], v[4:5]
	s_and_saveexec_b64 s[46:47], vcc
	s_cbranch_execz .LBB8_593
; %bb.585:                              ;   in Loop: Header=BB8_49 Depth=1
	s_mov_b32 s58, 0
	s_mov_b64 s[48:49], 0
                                        ; implicit-def: $sgpr50_sgpr51
                                        ; implicit-def: $sgpr52_sgpr53
	s_branch .LBB8_587
.LBB8_586:                              ;   in Loop: Header=BB8_587 Depth=2
	s_or_b64 exec, exec, s[56:57]
	s_and_b64 vcc, exec, vcc
	s_or_b64 s[48:49], vcc, s[48:49]
	s_andn2_b64 vcc, s[50:51], exec
	s_and_b64 s[50:51], s[52:53], exec
	s_or_b64 s[50:51], vcc, s[50:51]
	s_andn2_b64 exec, exec, s[48:49]
	s_cbranch_execz .LBB8_591
.LBB8_587:                              ;   Parent Loop BB8_49 Depth=1
                                        ; =>  This Inner Loop Header: Depth=2
	s_add_i32 s58, s58, 1
	s_cmpk_lg_i32 s58, 0x2710
	s_cselect_b64 s[54:55], -1, 0
	s_and_b64 vcc, exec, s[54:55]
                                        ; implicit-def: $sgpr56_sgpr57
	s_cbranch_vccnz .LBB8_589
; %bb.588:                              ;   in Loop: Header=BB8_587 Depth=2
	s_trap 2
	ds_read_b64 v[2:3], v0
	s_andn2_b64 s[54:55], s[54:55], exec
	s_mov_b32 s58, 0
	s_mov_b64 s[56:57], -1
	s_waitcnt lgkmcnt(0)
	flat_load_dword v1, v[2:3] glc
	s_waitcnt vmcnt(0) lgkmcnt(0)
	buffer_invl2
	buffer_wbinvl1_vol
	v_cmp_eq_u32_e32 vcc, 0, v1
	s_and_b64 vcc, vcc, exec
	s_or_b64 s[54:55], s[54:55], vcc
.LBB8_589:                              ;   in Loop: Header=BB8_587 Depth=2
	s_andn2_b64 s[52:53], s[52:53], exec
	s_and_b64 s[56:57], s[56:57], exec
	s_mov_b64 vcc, -1
	s_or_b64 s[52:53], s[52:53], s[56:57]
	s_and_saveexec_b64 s[56:57], s[54:55]
	s_cbranch_execz .LBB8_586
; %bb.590:                              ;   in Loop: Header=BB8_587 Depth=2
	s_sleep 1
	s_trap 2
	ds_read_b64 v[2:3], v0
	v_accvgpr_read_b32 v4, a20
	v_accvgpr_read_b32 v5, a21
	s_andn2_b64 s[52:53], s[52:53], exec
	s_waitcnt lgkmcnt(0)
	v_cmp_ge_u64_e32 vcc, v[2:3], v[4:5]
	s_orn2_b64 vcc, vcc, exec
	s_branch .LBB8_586
.LBB8_591:                              ;   in Loop: Header=BB8_49 Depth=1
	s_or_b64 exec, exec, s[48:49]
	s_and_saveexec_b64 vcc, s[50:51]
	s_xor_b64 vcc, exec, vcc
	s_cbranch_execz .LBB8_593
; %bb.592:                              ;   in Loop: Header=BB8_49 Depth=1
	v_mov_b32_e32 v1, 1
	ds_write_b32 v0, v1
	s_trap 2
.LBB8_593:                              ;   in Loop: Header=BB8_49 Depth=1
	s_or_b64 exec, exec, s[46:47]
	;;#ASMSTART
	s_wakeup
	;;#ASMEND
.LBB8_594:                              ;   in Loop: Header=BB8_49 Depth=1
	s_or_b64 exec, exec, s[44:45]
.LBB8_595:                              ;   in Loop: Header=BB8_49 Depth=1
	s_andn2_saveexec_b64 s[26:27], s[26:27]
	s_cbranch_execz .LBB8_597
; %bb.596:                              ;   in Loop: Header=BB8_49 Depth=1
	s_waitcnt vmcnt(0) lgkmcnt(0)
	buffer_wbinvl1_vol
	s_barrier
.LBB8_597:                              ;   in Loop: Header=BB8_49 Depth=1
	s_or_b64 exec, exec, s[26:27]
.LBB8_598:                              ;   in Loop: Header=BB8_49 Depth=1
	s_or_b64 exec, exec, s[22:23]
	s_trap 2
	ds_read_b32 v1, v0
	v_cmp_lt_i32_e32 vcc, 0, v0
	v_and_b32_e32 v0, 16, v62
	s_waitcnt lgkmcnt(0)
	v_readfirstlane_b32 s22, v1
	s_cmp_eq_u32 s22, 0
	s_cselect_b64 s[22:23], -1, 0
	s_and_b64 s[22:23], vcc, s[22:23]
	v_cmp_ne_u32_e32 vcc, 0, v0
	s_and_b64 s[26:27], vcc, s[22:23]
	s_and_saveexec_b64 s[22:23], s[26:27]
	s_cbranch_execz .LBB8_600
; %bb.599:                              ;   in Loop: Header=BB8_49 Depth=1
	s_waitcnt vmcnt(0)
	buffer_wbinvl1_vol
.LBB8_600:                              ;   in Loop: Header=BB8_49 Depth=1
	s_or_b64 exec, exec, s[22:23]
	v_cmp_ne_u32_e32 vcc, 0, v0
	s_xor_b64 s[22:23], s[20:21], -1
	s_and_b64 s[26:27], vcc, s[22:23]
	s_and_saveexec_b64 s[22:23], s[26:27]
	s_cbranch_execz .LBB8_602
; %bb.601:                              ;   in Loop: Header=BB8_49 Depth=1
	v_accvgpr_read_b32 v0, a24
	v_accvgpr_read_b32 v1, a25
	v_mov_b32_e32 v2, 1
	flat_store_dword v[0:1], v2
.LBB8_602:                              ;   in Loop: Header=BB8_49 Depth=1
	s_or_b64 exec, exec, s[22:23]
	v_and_b32_e32 v0, 48, v62
	v_cmp_ne_u32_e32 vcc, 0, v0
	s_and_saveexec_b64 s[22:23], vcc
	s_cbranch_execz .LBB8_47
; %bb.603:                              ;   in Loop: Header=BB8_49 Depth=1
	v_accvgpr_read_b32 v0, a12
	v_accvgpr_read_b32 v2, a14
	;; [unrolled: 1-line block ×3, first 2 shown]
	v_add_co_u32_e32 v2, vcc, 1, v2
	v_addc_co_u32_e32 v3, vcc, 0, v3, vcc
	v_accvgpr_read_b32 v1, a13
	v_accvgpr_write_b32 a15, v3
	v_accvgpr_write_b32 a14, v2
	;; [unrolled: 1-line block ×4, first 2 shown]
	flat_store_dwordx2 v[42:43], v[2:3]
	s_branch .LBB8_47
.LBB8_604:
	s_or_b64 exec, exec, s[40:41]
	v_accvgpr_read_b32 v25, a11
	v_accvgpr_read_b32 v29, a15
	;; [unrolled: 1-line block ×9, first 2 shown]
.LBB8_605:
	s_or_b64 exec, exec, s[36:37]
                                        ; implicit-def: $agpr6_agpr7
                                        ; implicit-def: $vgpr22_vgpr23
                                        ; implicit-def: $agpr16
                                        ; implicit-def: $vgpr46_vgpr47
                                        ; implicit-def: $agpr18_agpr19
                                        ; implicit-def: $vgpr42_vgpr43
                                        ; implicit-def: $vgpr0
                                        ; implicit-def: $vgpr5
                                        ; implicit-def: $vgpr34_vgpr35
.LBB8_606:
	s_andn2_saveexec_b64 s[24:25], s[34:35]
	s_cbranch_execz .LBB8_1156
; %bb.607:
	v_pk_mov_b32 v[2:3], 0, 0
	v_accvgpr_write_b32 a21, v3
	v_accvgpr_write_b32 a20, v2
	s_and_saveexec_b64 s[26:27], s[6:7]
	s_cbranch_execz .LBB8_1155
; %bb.608:
	s_lshr_b32 s6, s64, 27
	s_add_i32 s6, s64, s6
	s_ashr_i32 s60, s6, 5
	v_cmp_ge_i32_e64 s[6:7], v0, v1
	v_cmp_eq_u32_e32 vcc, 64, v1
	v_cmp_ne_u32_e64 s[10:11], 64, v1
	s_waitcnt vmcnt(0)
	v_cmp_ne_u32_sdwa s[34:35], v19, v1 src0_sel:WORD_0 src1_sel:DWORD
	v_accvgpr_write_b32 a0, v1
	v_lshrrev_b32_e32 v30, 6, v1
	v_ashrrev_i32_e32 v1, 31, v0
	v_lshrrev_b32_e32 v1, 26, v1
	v_add_u32_e32 v1, v0, v1
	v_ashrrev_i32_e32 v33, 6, v1
	v_and_b32_e32 v1, 0xffffffc0, v1
	v_sub_u32_e32 v36, v0, v1
	v_lshlrev_b32_e32 v0, 4, v36
	v_lshl_add_u32 v38, v33, 11, v0
	v_mov_b32_e32 v0, 0xfffff800
	v_lshl_add_u32 v0, v30, 11, v0
	s_movk_i32 s61, 0x800
	v_ashrrev_i32_e32 v1, 31, v0
	v_accvgpr_write_b32 a28, v0
	v_add_co_u32_e64 v0, s[18:19], s61, v0
	v_accvgpr_write_b32 a27, v0
	v_addc_co_u32_e64 v0, s[18:19], 0, v1, s[18:19]
	v_accvgpr_write_b32 a29, v0
	v_lshrrev_b32_e64 v0, 6, s33
	v_add_u32_e32 v0, 0xc0, v0
	v_lshlrev_b32_e32 v48, 10, v30
	v_add_u32_e32 v39, 16, v0
	v_lshrrev_b32_e64 v0, 6, s33
	v_add_u32_e32 v50, 0xfffffc00, v48
	s_movk_i32 s62, 0x400
	v_add_u32_e32 v0, 0xa0, v0
	v_ashrrev_i32_e32 v49, 31, v50
	v_add_co_u32_e64 v51, s[18:19], s62, v50
	v_add_u32_e32 v56, 16, v0
	v_addc_co_u32_e64 v54, s[18:19], 0, v49, s[18:19]
	v_mov_b32_e32 v0, 0xfffffe00
	v_lshl_add_u32 v0, v30, 9, v0
	s_movk_i32 s18, 0x200
	s_waitcnt lgkmcnt(0)
	v_accvgpr_write_b32 a12, v26
	v_accvgpr_write_b32 a25, v1
	v_ashrrev_i32_e32 v1, 31, v0
	v_add_co_u32_e64 v55, s[18:19], s18, v0
	v_accvgpr_write_b32 a13, v27
	v_accvgpr_write_b32 a14, v28
	;; [unrolled: 1-line block ×3, first 2 shown]
	v_addc_co_u32_e64 v52, s[18:19], 0, v1, s[18:19]
	v_lshlrev_b32_e32 v27, 7, v30
	v_accvgpr_write_b32 a36, v0
	v_add_u32_e32 v0, 0xffffff80, v27
	s_movk_i32 s18, 0x80
	v_accvgpr_write_b32 a37, v1
	v_ashrrev_i32_e32 v1, 31, v0
	v_add_co_u32_e64 v28, s[18:19], s18, v0
	v_pk_mov_b32 v[44:45], 0, 0
	v_accvgpr_write_b32 a10, v24
	v_and_b32_e32 v2, 63, v31
	v_addc_co_u32_e64 v29, s[18:19], 0, v1, s[18:19]
	v_accvgpr_write_b32 a20, v44
	v_accvgpr_write_b32 a11, v25
	;; [unrolled: 1-line block ×4, first 2 shown]
	v_cmp_eq_u32_e64 s[12:13], 0, v2
	v_mov_b32_e32 v53, 0
	v_cmp_le_i32_e64 s[14:15], v36, v5
	v_cmp_gt_i32_e64 s[16:17], 1, v36
	v_ashrrev_i32_e32 v37, 31, v38
	v_accvgpr_write_b32 a42, v0
	v_accvgpr_write_b32 a41, v1
	s_mov_b64 s[36:37], 0
	s_movk_i32 s63, 0x270e
	s_xor_b64 s[38:39], vcc, -1
	s_mov_b32 s65, 0x7f800000
	s_movk_i32 s66, 0x7fff
	s_mov_b32 s67, 0xffff0000
	v_accvgpr_write_b32 a21, v45
	v_accvgpr_write_b32 a39, v52
	;; [unrolled: 1-line block ×5, first 2 shown]
	s_trap 2
	s_branch .LBB8_611
.LBB8_609:                              ;   in Loop: Header=BB8_611 Depth=1
	s_or_b64 exec, exec, s[18:19]
.LBB8_610:                              ;   in Loop: Header=BB8_611 Depth=1
	s_or_b64 exec, exec, s[20:21]
	v_add_co_u32_e32 v44, vcc, v44, v34
	v_accvgpr_read_b32 v23, a5
	v_addc_co_u32_e32 v45, vcc, 0, v45, vcc
	v_accvgpr_read_b32 v22, a4
	v_cmp_ge_u64_e32 vcc, v[44:45], v[22:23]
	s_or_b64 s[36:37], vcc, s[36:37]
	s_andn2_b64 exec, exec, s[36:37]
	s_cbranch_execz .LBB8_1154
.LBB8_611:                              ; =>This Loop Header: Depth=1
                                        ;     Child Loop BB8_622 Depth 2
                                        ;     Child Loop BB8_644 Depth 2
	;; [unrolled: 1-line block ×5, first 2 shown]
                                        ;       Child Loop BB8_888 Depth 3
                                        ;       Child Loop BB8_925 Depth 3
                                        ;     Child Loop BB8_1002 Depth 2
                                        ;     Child Loop BB8_1061 Depth 2
                                        ;       Child Loop BB8_1062 Depth 3
                                        ;       Child Loop BB8_1071 Depth 3
                                        ;     Child Loop BB8_1092 Depth 2
                                        ;     Child Loop BB8_1117 Depth 2
	;; [unrolled: 1-line block ×3, first 2 shown]
	v_sub_co_u32_e32 v0, vcc, v22, v44
	v_subb_co_u32_e32 v1, vcc, v23, v45, vcc
	v_cmp_lt_u64_e32 vcc, v[34:35], v[0:1]
	v_cndmask_b32_e64 v3, v1, 0, vcc
	v_cndmask_b32_e32 v2, v0, v34, vcc
	v_add_u32_e32 v0, 15, v2
	v_cmp_eq_u64_e32 vcc, 0, v[2:3]
	v_accvgpr_write_b32 a4, v22
	v_and_b32_e32 v0, 0x3ffffff0, v0
	s_or_b64 s[40:41], s[6:7], vcc
	v_accvgpr_write_b32 a5, v23
	v_max_i32_e32 v8, s60, v0
	v_accvgpr_write_b32 a46, v2
	s_xor_b64 s[18:19], s[40:41], -1
	v_mov_b32_e32 v10, 0
	s_and_saveexec_b64 s[42:43], s[18:19]
	s_cbranch_execz .LBB8_1108
; %bb.612:                              ;   in Loop: Header=BB8_611 Depth=1
	s_and_saveexec_b64 s[18:19], s[4:5]
	s_cbranch_execz .LBB8_614
; %bb.613:                              ;   in Loop: Header=BB8_611 Depth=1
	s_trap 2
	ds_read2_b64 v[0:3], v0 offset1:1
	v_accvgpr_read_b32 v4, a6
	v_accvgpr_read_b32 v5, a7
	v_add_co_u32_e32 v4, vcc, v44, v4
	v_addc_co_u32_e32 v5, vcc, v45, v5, vcc
	v_lshlrev_b64 v[4:5], 1, v[4:5]
	s_waitcnt lgkmcnt(0)
	ds_read_b64 v[6:7], v0
	v_add_co_u32_e32 v0, vcc, v0, v4
	v_addc_co_u32_e32 v1, vcc, v1, v5, vcc
	ds_write_b64 v0, v[0:1]
	v_add_co_u32_e32 v0, vcc, v2, v4
	v_addc_co_u32_e32 v1, vcc, v3, v5, vcc
	ds_write_b64 v0, v[0:1]
	s_waitcnt lgkmcnt(0)
	v_add_co_u32_e32 v0, vcc, v6, v4
	v_addc_co_u32_e32 v1, vcc, v7, v5, vcc
	v_cmp_ne_u64_e32 vcc, 0, v[6:7]
	v_cndmask_b32_e32 v1, 0, v1, vcc
	v_cndmask_b32_e32 v0, 0, v0, vcc
	ds_write_b64 v0, v[0:1]
.LBB8_614:                              ;   in Loop: Header=BB8_611 Depth=1
	s_or_b64 exec, exec, s[18:19]
	v_and_b32_e32 v0, 4, v62
	v_cmp_ne_u32_e32 vcc, 0, v0
	s_mov_b64 s[20:21], -1
	s_and_saveexec_b64 s[18:19], vcc
	s_cbranch_execnz .LBB8_617
; %bb.615:                              ;   in Loop: Header=BB8_611 Depth=1
	s_or_b64 exec, exec, s[18:19]
	s_xor_b64 s[18:19], s[20:21], -1
	s_and_saveexec_b64 s[20:21], s[18:19]
	s_cbranch_execnz .LBB8_628
.LBB8_616:                              ;   in Loop: Header=BB8_611 Depth=1
	s_or_b64 exec, exec, s[20:21]
	s_and_saveexec_b64 s[18:19], s[10:11]
	s_cbranch_execnz .LBB8_637
	s_branch .LBB8_655
.LBB8_617:                              ;   in Loop: Header=BB8_611 Depth=1
	v_accvgpr_read_b32 v0, a12
	v_accvgpr_read_b32 v2, a14
	;; [unrolled: 1-line block ×4, first 2 shown]
	v_add_co_u32_e32 v0, vcc, 1, v2
	v_addc_co_u32_e32 v1, vcc, 0, v3, vcc
	v_cmp_lt_u64_e32 vcc, v[46:47], v[0:1]
	v_mov_b32_e32 v2, 1
	s_and_saveexec_b64 s[20:21], vcc
	s_cbranch_execz .LBB8_627
; %bb.618:                              ;   in Loop: Header=BB8_611 Depth=1
	s_mov_b64 s[22:23], 0
	v_mov_b32_e32 v2, 0
                                        ; implicit-def: $sgpr44_sgpr45
	s_branch .LBB8_622
.LBB8_619:                              ;   in Loop: Header=BB8_622 Depth=2
	s_or_b64 exec, exec, s[52:53]
	v_mov_b32_e32 v3, 0
	s_orn2_b64 s[50:51], s[50:51], exec
.LBB8_620:                              ;   in Loop: Header=BB8_622 Depth=2
	s_or_b64 exec, exec, s[48:49]
	s_andn2_b64 vcc, s[44:45], exec
	s_and_b64 s[44:45], s[50:51], exec
	s_or_b64 s[44:45], vcc, s[44:45]
	v_mov_b32_e32 v2, v3
.LBB8_621:                              ;   in Loop: Header=BB8_622 Depth=2
	s_or_b64 exec, exec, s[46:47]
	s_waitcnt vmcnt(0) lgkmcnt(0)
	v_cmp_ge_u64_e32 vcc, v[46:47], v[0:1]
	s_xor_b64 s[46:47], s[44:45], -1
	s_or_b64 vcc, s[46:47], vcc
	s_and_b64 vcc, exec, vcc
	s_or_b64 s[22:23], vcc, s[22:23]
	s_andn2_b64 exec, exec, s[22:23]
	s_cbranch_execz .LBB8_626
.LBB8_622:                              ;   Parent Loop BB8_611 Depth=1
                                        ; =>  This Inner Loop Header: Depth=2
	s_sleep 1
	flat_load_dwordx2 v[46:47], v[42:43] glc
	v_and_b32_e32 v3, 64, v62
	v_cmp_eq_u32_e32 vcc, 0, v3
	s_andn2_b64 s[44:45], s[44:45], exec
	s_and_saveexec_b64 s[46:47], vcc
	s_cbranch_execz .LBB8_621
; %bb.623:                              ;   in Loop: Header=BB8_622 Depth=2
	v_add_u32_e32 v3, 1, v2
	v_cmp_lt_i32_e32 vcc, s63, v2
	s_mov_b64 s[50:51], -1
	s_and_saveexec_b64 s[48:49], vcc
	s_cbranch_execz .LBB8_620
; %bb.624:                              ;   in Loop: Header=BB8_622 Depth=2
	s_trap 2
	ds_read_b64 v[2:3], v0
	s_waitcnt vmcnt(0) lgkmcnt(0)
	flat_load_dword v2, v[2:3] glc
	s_waitcnt vmcnt(0) lgkmcnt(0)
	buffer_invl2
	buffer_wbinvl1_vol
	v_cmp_ne_u32_e32 vcc, 0, v2
	s_and_saveexec_b64 s[52:53], vcc
	s_cbranch_execz .LBB8_619
; %bb.625:                              ;   in Loop: Header=BB8_622 Depth=2
	v_or_b32_e32 v62, 64, v62
	s_xor_b64 s[50:51], exec, -1
	ds_write_b32 v0, v2
	s_trap 2
	s_branch .LBB8_619
.LBB8_626:                              ;   in Loop: Header=BB8_611 Depth=1
	s_or_b64 exec, exec, s[22:23]
	v_and_b32_e32 v2, 4, v62
.LBB8_627:                              ;   in Loop: Header=BB8_611 Depth=1
	s_or_b64 exec, exec, s[20:21]
	v_cmp_eq_u32_e32 vcc, 0, v2
	s_orn2_b64 s[20:21], vcc, exec
	;;#ASMSTART
	s_wakeup
	;;#ASMEND
	s_or_b64 exec, exec, s[18:19]
	s_xor_b64 s[18:19], s[20:21], -1
	s_and_saveexec_b64 s[20:21], s[18:19]
	s_cbranch_execz .LBB8_616
.LBB8_628:                              ;   in Loop: Header=BB8_611 Depth=1
	v_and_b32_e32 v0, 0x100, v62
	v_cmp_ne_u32_e32 vcc, 0, v0
	v_accvgpr_read_b32 v0, a12
	v_accvgpr_read_b32 v2, a14
	;; [unrolled: 1-line block ×3, first 2 shown]
	v_and_b32_e32 v4, 7, v2
	s_mov_b64 s[18:19], -1
	v_accvgpr_read_b32 v3, a15
                                        ; implicit-def: $vgpr0_vgpr1
	s_and_saveexec_b64 s[22:23], vcc
	s_cbranch_execz .LBB8_632
; %bb.629:                              ;   in Loop: Header=BB8_611 Depth=1
	v_accvgpr_read_b32 v0, a12
	v_accvgpr_read_b32 v1, a13
	;; [unrolled: 1-line block ×4, first 2 shown]
	v_mad_u64_u32 v[2:3], s[18:19], v4, 24, v[0:1]
	flat_load_dword v0, v[2:3]
	s_waitcnt vmcnt(0) lgkmcnt(0)
	v_cmp_ne_u32_e32 vcc, 1, v0
	v_cmp_eq_u32_e64 s[18:19], 1, v0
                                        ; implicit-def: $vgpr0_vgpr1
	s_and_saveexec_b64 s[44:45], s[18:19]
	s_cbranch_execz .LBB8_631
; %bb.630:                              ;   in Loop: Header=BB8_611 Depth=1
	flat_load_dword v0, v[2:3] offset:4 glc
	s_waitcnt vmcnt(0) lgkmcnt(0)
	v_ashrrev_i32_e32 v1, 31, v0
	v_lshrrev_b64 v[0:1], 1, v[0:1]
.LBB8_631:                              ;   in Loop: Header=BB8_611 Depth=1
	s_or_b64 exec, exec, s[44:45]
	s_orn2_b64 s[18:19], vcc, exec
.LBB8_632:                              ;   in Loop: Header=BB8_611 Depth=1
	s_or_b64 exec, exec, s[22:23]
	s_and_saveexec_b64 s[22:23], s[18:19]
; %bb.633:                              ;   in Loop: Header=BB8_611 Depth=1
	v_accvgpr_read_b32 v0, a16
	v_mad_i64_i32 v[0:1], s[18:19], v4, v0, 0
; %bb.634:                              ;   in Loop: Header=BB8_611 Depth=1
	s_or_b64 exec, exec, s[22:23]
	v_lshlrev_b64 v[0:1], 1, v[0:1]
	v_accvgpr_read_b32 v2, a18
	v_accvgpr_read_b32 v3, a19
	v_add_co_u32_e32 v0, vcc, v2, v0
	v_addc_co_u32_e32 v1, vcc, v3, v1, vcc
	ds_write_b64 v0, v[0:1] offset:728
	v_and_b32_e32 v0, 0x2000, v62
	v_cmp_ne_u32_e32 vcc, 0, v0
	s_and_saveexec_b64 s[18:19], vcc
	s_cbranch_execz .LBB8_636
; %bb.635:                              ;   in Loop: Header=BB8_611 Depth=1
	ds_read_b64 v[0:1], v0 offset:584
	s_waitcnt lgkmcnt(0)
	v_add_co_u32_e32 v0, vcc, 1, v0
	v_addc_co_u32_e32 v1, vcc, 0, v1, vcc
	ds_write_b64 v0, v[0:1] offset:584
.LBB8_636:                              ;   in Loop: Header=BB8_611 Depth=1
	s_or_b64 exec, exec, s[18:19]
	v_accvgpr_read_b32 v0, a12
	v_accvgpr_read_b32 v2, a14
	;; [unrolled: 1-line block ×3, first 2 shown]
	v_add_co_u32_e32 v2, vcc, 1, v2
	v_addc_co_u32_e32 v3, vcc, 0, v3, vcc
	v_accvgpr_read_b32 v1, a13
	v_accvgpr_write_b32 a15, v3
	v_accvgpr_write_b32 a14, v2
	;; [unrolled: 1-line block ×4, first 2 shown]
	s_or_b64 exec, exec, s[20:21]
	s_and_saveexec_b64 s[18:19], s[10:11]
	s_cbranch_execz .LBB8_655
.LBB8_637:                              ;   in Loop: Header=BB8_611 Depth=1
	s_and_saveexec_b64 s[20:21], s[34:35]
	s_xor_b64 s[20:21], exec, s[20:21]
	s_cbranch_execz .LBB8_652
; %bb.638:                              ;   in Loop: Header=BB8_611 Depth=1
	s_and_saveexec_b64 s[22:23], s[12:13]
	s_cbranch_execz .LBB8_651
; %bb.639:                              ;   in Loop: Header=BB8_611 Depth=1
	s_mov_b64 s[46:47], exec
	v_mbcnt_lo_u32_b32 v0, s46, 0
	v_mbcnt_hi_u32_b32 v0, s47, v0
	v_cmp_eq_u32_e32 vcc, 0, v0
	s_waitcnt vmcnt(0) lgkmcnt(0)
	buffer_wbinvl1_vol
	s_and_saveexec_b64 s[44:45], vcc
	s_cbranch_execz .LBB8_641
; %bb.640:                              ;   in Loop: Header=BB8_611 Depth=1
	s_bcnt1_i32_b64 vcc_lo, s[46:47]
	v_mov_b32_e32 v52, vcc_lo
	ds_add_u64 v0, v[52:53]
	v_accvgpr_read_b32 v52, a39
	s_trap 2
.LBB8_641:                              ;   in Loop: Header=BB8_611 Depth=1
	s_or_b64 exec, exec, s[44:45]
	s_trap 2
	ds_read_b64 v[0:1], v0
	v_accvgpr_read_b32 v2, a20
	v_accvgpr_read_b32 v3, a21
	v_add_co_u32_e32 v2, vcc, v2, v30
	v_addc_co_u32_e32 v3, vcc, 0, v3, vcc
	v_accvgpr_write_b32 a21, v3
	v_accvgpr_write_b32 a20, v2
	s_waitcnt lgkmcnt(0)
	v_cmp_lt_u64_e32 vcc, v[0:1], v[2:3]
	s_and_saveexec_b64 s[44:45], vcc
	s_cbranch_execz .LBB8_650
; %bb.642:                              ;   in Loop: Header=BB8_611 Depth=1
	s_mov_b32 s56, 0
	s_mov_b64 s[46:47], 0
                                        ; implicit-def: $sgpr48_sgpr49
                                        ; implicit-def: $sgpr50_sgpr51
	s_branch .LBB8_644
.LBB8_643:                              ;   in Loop: Header=BB8_644 Depth=2
	s_or_b64 exec, exec, s[54:55]
	s_and_b64 vcc, exec, vcc
	s_or_b64 s[46:47], vcc, s[46:47]
	s_andn2_b64 vcc, s[48:49], exec
	s_and_b64 s[48:49], s[50:51], exec
	s_or_b64 s[48:49], vcc, s[48:49]
	s_andn2_b64 exec, exec, s[46:47]
	s_cbranch_execz .LBB8_648
.LBB8_644:                              ;   Parent Loop BB8_611 Depth=1
                                        ; =>  This Inner Loop Header: Depth=2
	s_add_i32 s56, s56, 1
	s_cmpk_lg_i32 s56, 0x2710
	s_cselect_b64 s[52:53], -1, 0
	s_and_b64 vcc, exec, s[52:53]
                                        ; implicit-def: $sgpr54_sgpr55
	s_cbranch_vccnz .LBB8_646
; %bb.645:                              ;   in Loop: Header=BB8_644 Depth=2
	s_trap 2
	ds_read_b64 v[0:1], v0
	s_andn2_b64 s[52:53], s[52:53], exec
	s_mov_b32 s56, 0
	s_mov_b64 s[54:55], -1
	s_waitcnt lgkmcnt(0)
	flat_load_dword v0, v[0:1] glc
	s_waitcnt vmcnt(0) lgkmcnt(0)
	buffer_invl2
	buffer_wbinvl1_vol
	v_cmp_eq_u32_e32 vcc, 0, v0
	s_and_b64 vcc, vcc, exec
	s_or_b64 s[52:53], s[52:53], vcc
.LBB8_646:                              ;   in Loop: Header=BB8_644 Depth=2
	s_andn2_b64 s[50:51], s[50:51], exec
	s_and_b64 s[54:55], s[54:55], exec
	s_mov_b64 vcc, -1
	s_or_b64 s[50:51], s[50:51], s[54:55]
	s_and_saveexec_b64 s[54:55], s[52:53]
	s_cbranch_execz .LBB8_643
; %bb.647:                              ;   in Loop: Header=BB8_644 Depth=2
	s_sleep 1
	s_trap 2
	ds_read_b64 v[0:1], v0
	v_accvgpr_read_b32 v2, a20
	v_accvgpr_read_b32 v3, a21
	s_andn2_b64 s[50:51], s[50:51], exec
	s_waitcnt lgkmcnt(0)
	v_cmp_ge_u64_e32 vcc, v[0:1], v[2:3]
	s_orn2_b64 vcc, vcc, exec
	s_branch .LBB8_643
.LBB8_648:                              ;   in Loop: Header=BB8_611 Depth=1
	s_or_b64 exec, exec, s[46:47]
	s_and_saveexec_b64 vcc, s[48:49]
	s_xor_b64 vcc, exec, vcc
	s_cbranch_execz .LBB8_650
; %bb.649:                              ;   in Loop: Header=BB8_611 Depth=1
	v_mov_b32_e32 v0, 1
	ds_write_b32 v0, v0
	s_trap 2
.LBB8_650:                              ;   in Loop: Header=BB8_611 Depth=1
	s_or_b64 exec, exec, s[44:45]
	;;#ASMSTART
	s_wakeup
	;;#ASMEND
.LBB8_651:                              ;   in Loop: Header=BB8_611 Depth=1
	s_or_b64 exec, exec, s[22:23]
.LBB8_652:                              ;   in Loop: Header=BB8_611 Depth=1
	s_andn2_saveexec_b64 s[20:21], s[20:21]
	s_cbranch_execz .LBB8_654
; %bb.653:                              ;   in Loop: Header=BB8_611 Depth=1
	s_waitcnt vmcnt(0) lgkmcnt(0)
	buffer_wbinvl1_vol
	s_barrier
.LBB8_654:                              ;   in Loop: Header=BB8_611 Depth=1
	s_or_b64 exec, exec, s[20:21]
.LBB8_655:                              ;   in Loop: Header=BB8_611 Depth=1
	s_or_b64 exec, exec, s[18:19]
	s_trap 2
	ds_read_b32 v0, v0
	v_and_b32_e32 v1, 0x4000, v62
	v_cmp_ne_u32_e32 vcc, 0, v1
	s_and_b64 s[20:21], s[38:39], vcc
	s_and_saveexec_b64 s[18:19], s[20:21]
	s_cbranch_execz .LBB8_674
; %bb.656:                              ;   in Loop: Header=BB8_611 Depth=1
	s_and_saveexec_b64 s[20:21], s[34:35]
	s_xor_b64 s[20:21], exec, s[20:21]
	s_cbranch_execz .LBB8_671
; %bb.657:                              ;   in Loop: Header=BB8_611 Depth=1
	s_and_saveexec_b64 s[22:23], s[12:13]
	s_cbranch_execz .LBB8_670
; %bb.658:                              ;   in Loop: Header=BB8_611 Depth=1
	s_mov_b64 s[46:47], exec
	v_mbcnt_lo_u32_b32 v1, s46, 0
	v_mbcnt_hi_u32_b32 v1, s47, v1
	v_cmp_eq_u32_e32 vcc, 0, v1
	s_waitcnt vmcnt(0) lgkmcnt(0)
	buffer_wbinvl1_vol
	s_and_saveexec_b64 s[44:45], vcc
	s_cbranch_execz .LBB8_660
; %bb.659:                              ;   in Loop: Header=BB8_611 Depth=1
	s_bcnt1_i32_b64 vcc_lo, s[46:47]
	v_mov_b32_e32 v52, vcc_lo
	ds_add_u64 v0, v[52:53]
	v_accvgpr_read_b32 v52, a39
	s_trap 2
.LBB8_660:                              ;   in Loop: Header=BB8_611 Depth=1
	s_or_b64 exec, exec, s[44:45]
	s_trap 2
	ds_read_b64 v[2:3], v0
	v_accvgpr_read_b32 v4, a20
	v_accvgpr_read_b32 v5, a21
	v_add_co_u32_e32 v4, vcc, v4, v30
	v_addc_co_u32_e32 v5, vcc, 0, v5, vcc
	v_accvgpr_write_b32 a21, v5
	v_accvgpr_write_b32 a20, v4
	s_waitcnt lgkmcnt(0)
	v_cmp_lt_u64_e32 vcc, v[2:3], v[4:5]
	s_and_saveexec_b64 s[44:45], vcc
	s_cbranch_execz .LBB8_669
; %bb.661:                              ;   in Loop: Header=BB8_611 Depth=1
	s_mov_b32 s56, 0
	s_mov_b64 s[46:47], 0
                                        ; implicit-def: $sgpr48_sgpr49
                                        ; implicit-def: $sgpr50_sgpr51
	s_branch .LBB8_663
.LBB8_662:                              ;   in Loop: Header=BB8_663 Depth=2
	s_or_b64 exec, exec, s[54:55]
	s_and_b64 vcc, exec, vcc
	s_or_b64 s[46:47], vcc, s[46:47]
	s_andn2_b64 vcc, s[48:49], exec
	s_and_b64 s[48:49], s[50:51], exec
	s_or_b64 s[48:49], vcc, s[48:49]
	s_andn2_b64 exec, exec, s[46:47]
	s_cbranch_execz .LBB8_667
.LBB8_663:                              ;   Parent Loop BB8_611 Depth=1
                                        ; =>  This Inner Loop Header: Depth=2
	s_add_i32 s56, s56, 1
	s_cmpk_lg_i32 s56, 0x2710
	s_cselect_b64 s[52:53], -1, 0
	s_and_b64 vcc, exec, s[52:53]
                                        ; implicit-def: $sgpr54_sgpr55
	s_cbranch_vccnz .LBB8_665
; %bb.664:                              ;   in Loop: Header=BB8_663 Depth=2
	s_trap 2
	ds_read_b64 v[2:3], v0
	s_andn2_b64 s[52:53], s[52:53], exec
	s_mov_b32 s56, 0
	s_mov_b64 s[54:55], -1
	s_waitcnt lgkmcnt(0)
	flat_load_dword v1, v[2:3] glc
	s_waitcnt vmcnt(0) lgkmcnt(0)
	buffer_invl2
	buffer_wbinvl1_vol
	v_cmp_eq_u32_e32 vcc, 0, v1
	s_and_b64 vcc, vcc, exec
	s_or_b64 s[52:53], s[52:53], vcc
.LBB8_665:                              ;   in Loop: Header=BB8_663 Depth=2
	s_andn2_b64 s[50:51], s[50:51], exec
	s_and_b64 s[54:55], s[54:55], exec
	s_mov_b64 vcc, -1
	s_or_b64 s[50:51], s[50:51], s[54:55]
	s_and_saveexec_b64 s[54:55], s[52:53]
	s_cbranch_execz .LBB8_662
; %bb.666:                              ;   in Loop: Header=BB8_663 Depth=2
	s_sleep 1
	s_trap 2
	ds_read_b64 v[2:3], v0
	v_accvgpr_read_b32 v4, a20
	v_accvgpr_read_b32 v5, a21
	s_andn2_b64 s[50:51], s[50:51], exec
	s_waitcnt lgkmcnt(0)
	v_cmp_ge_u64_e32 vcc, v[2:3], v[4:5]
	s_orn2_b64 vcc, vcc, exec
	s_branch .LBB8_662
.LBB8_667:                              ;   in Loop: Header=BB8_611 Depth=1
	s_or_b64 exec, exec, s[46:47]
	s_and_saveexec_b64 vcc, s[48:49]
	s_xor_b64 vcc, exec, vcc
	s_cbranch_execz .LBB8_669
; %bb.668:                              ;   in Loop: Header=BB8_611 Depth=1
	v_mov_b32_e32 v1, 1
	ds_write_b32 v0, v1
	s_trap 2
.LBB8_669:                              ;   in Loop: Header=BB8_611 Depth=1
	s_or_b64 exec, exec, s[44:45]
	;;#ASMSTART
	s_wakeup
	;;#ASMEND
.LBB8_670:                              ;   in Loop: Header=BB8_611 Depth=1
	s_or_b64 exec, exec, s[22:23]
.LBB8_671:                              ;   in Loop: Header=BB8_611 Depth=1
	s_andn2_saveexec_b64 s[20:21], s[20:21]
	s_cbranch_execz .LBB8_673
; %bb.672:                              ;   in Loop: Header=BB8_611 Depth=1
	s_waitcnt vmcnt(0) lgkmcnt(0)
	buffer_wbinvl1_vol
	s_barrier
.LBB8_673:                              ;   in Loop: Header=BB8_611 Depth=1
	s_or_b64 exec, exec, s[20:21]
.LBB8_674:                              ;   in Loop: Header=BB8_611 Depth=1
	s_or_b64 exec, exec, s[18:19]
	s_trap 2
	s_waitcnt lgkmcnt(0)
	ds_read_b64 v[2:3], v0
	v_accvgpr_read_b32 v4, a46
	v_min_u32_e32 v8, v8, v4
	s_waitcnt lgkmcnt(0)
	v_readfirstlane_b32 s18, v2
	v_readfirstlane_b32 s19, v3
	s_cmp_eq_u64 s[18:19], 0
	s_cselect_b64 s[18:19], -1, 0
	s_or_b64 s[20:21], s[18:19], s[18:19]
	s_mov_b64 s[18:19], 0
	s_and_b64 vcc, exec, s[20:21]
	s_cbranch_vccnz .LBB8_1084
; %bb.675:                              ;   in Loop: Header=BB8_611 Depth=1
	s_mov_b64 s[18:19], -1
	s_and_saveexec_b64 s[20:21], s[14:15]
	s_cbranch_execz .LBB8_677
; %bb.676:                              ;   in Loop: Header=BB8_611 Depth=1
	ds_read_b32 v1, v0 offset:720
	s_waitcnt lgkmcnt(0)
	v_and_b32_e32 v1, 15, v1
	v_cmp_eq_u32_e32 vcc, 0, v1
	s_orn2_b64 s[18:19], vcc, exec
.LBB8_677:                              ;   in Loop: Header=BB8_611 Depth=1
	s_or_b64 exec, exec, s[20:21]
	v_accvgpr_write_b32 a45, v8
	s_and_saveexec_b64 s[20:21], s[16:17]
	s_cbranch_execz .LBB8_679
; %bb.678:                              ;   in Loop: Header=BB8_611 Depth=1
	ds_read_b32 v1, v0 offset:784
	s_waitcnt lgkmcnt(0)
	v_and_b32_e32 v1, 15, v1
	v_cmp_eq_u32_e32 vcc, 0, v1
	s_and_b64 s[22:23], s[18:19], vcc
	s_andn2_b64 s[18:19], s[18:19], exec
	s_and_b64 s[22:23], s[22:23], exec
	s_or_b64 s[18:19], s[18:19], s[22:23]
.LBB8_679:                              ;   in Loop: Header=BB8_611 Depth=1
	s_or_b64 exec, exec, s[20:21]
	v_cmp_eq_u32_e32 vcc, 0, v0
	v_accvgpr_read_b32 v0, a45
	s_xor_b64 s[18:19], s[18:19], -1
	v_cndmask_b32_e32 v5, 0, v0, vcc
	v_cndmask_b32_e64 v0, 0, 1, s[18:19]
	;;#ASMSTART
	;;#ASMEND
	s_trap 2
	ds_read_b64 v[6:7], v0
	v_mov_b32_e32 v19, 0
	v_lshlrev_b32_e32 v3, 1, v5
	s_mov_b64 s[18:19], -1
	v_cmp_ne_u32_e32 vcc, 0, v0
	v_accvgpr_write_b32 a47, v5
	s_cbranch_vccz .LBB8_681
; %bb.680:                              ;   in Loop: Header=BB8_611 Depth=1
	v_mov_b32_e32 v20, v36
	v_mov_b32_e32 v0, v33
	s_and_saveexec_b64 s[22:23], s[18:19]
	s_cbranch_execnz .LBB8_999
	s_branch .LBB8_1083
.LBB8_681:                              ;   in Loop: Header=BB8_611 Depth=1
	v_lshrrev_b32_e32 v0, 10, v5
	v_accvgpr_write_b32 a49, v0
	v_sub_u32_e32 v52, v0, v33
	s_waitcnt lgkmcnt(0)
	v_add_co_u32_e32 v0, vcc, v6, v38
	v_accvgpr_write_b32 a51, v7
	v_addc_co_u32_e32 v1, vcc, v7, v37, vcc
	v_accvgpr_write_b32 a48, v3
	v_accvgpr_write_b32 a50, v6
	v_cmp_lt_i32_e32 vcc, 0, v52
	s_mov_b64 s[20:21], 0
                                        ; implicit-def: $vgpr22_vgpr23
                                        ; implicit-def: $vgpr18_vgpr19
                                        ; implicit-def: $vgpr14_vgpr15
                                        ; implicit-def: $vgpr10_vgpr11
	s_and_saveexec_b64 s[18:19], vcc
	s_cbranch_execz .LBB8_817
; %bb.682:                              ;   in Loop: Header=BB8_611 Depth=1
	s_trap 2
	ds_read_b128 v[2:5], v0
	v_accvgpr_write_b32 a35, v54
	v_accvgpr_write_b32 a22, v34
	;; [unrolled: 1-line block ×4, first 2 shown]
	s_waitcnt lgkmcnt(0)
	v_add_co_u32_e32 v2, vcc, v2, v38
	v_addc_co_u32_e32 v3, vcc, v3, v37, vcc
	v_add_co_u32_e32 v54, vcc, v4, v38
	v_accvgpr_write_b32 a33, v49
	v_accvgpr_write_b32 a32, v50
	;; [unrolled: 1-line block ×5, first 2 shown]
	v_mov_b32_e32 v9, v33
	v_accvgpr_write_b32 a23, v35
	v_accvgpr_write_b32 a26, v38
	;; [unrolled: 1-line block ×3, first 2 shown]
	v_addc_co_u32_e32 v55, vcc, v5, v37, vcc
	s_mov_b64 s[44:45], 0
                                        ; implicit-def: $sgpr22_sgpr23
                                        ; implicit-def: $vgpr12_vgpr13
                                        ; implicit-def: $vgpr16_vgpr17
                                        ; implicit-def: $vgpr20_vgpr21
                                        ; implicit-def: $vgpr24_vgpr25
	s_branch .LBB8_684
.LBB8_683:                              ;   in Loop: Header=BB8_684 Depth=2
	s_or_b64 exec, exec, s[46:47]
	v_lshrrev_b32_e32 v2, 16, v31
	v_and_or_b32 v49, v49, s67, v2
	v_lshrrev_b32_e32 v2, 16, v58
	v_and_or_b32 v48, v48, s67, v2
	v_lshrrev_b32_e32 v2, 16, v59
	v_and_or_b32 v50, v38, s67, v2
	v_lshrrev_b32_e32 v2, 16, v4
	v_and_or_b32 v51, v36, s67, v2
	v_lshrrev_b32_e32 v2, 16, v5
	v_lshrrev_b32_e32 v4, 16, v30
	v_and_or_b32 v3, v33, s67, v2
	v_lshrrev_b32_e32 v2, 16, v37
	v_and_or_b32 v4, v28, s67, v4
	v_lshrrev_b32_e32 v5, 16, v6
	v_and_or_b32 v2, v32, s67, v2
	v_and_or_b32 v5, v7, s67, v5
	global_store_dwordx4 v[0:1], v[48:51], off glc slc
	global_store_dwordx4 v[0:1], v[2:5], off offset:1024 glc slc
	v_accvgpr_read_b32 v7, a27
	v_accvgpr_read_b32 v4, a28
	v_add_co_u32_e32 v2, vcc, v60, v4
	v_accvgpr_read_b32 v5, a25
	v_addc_co_u32_e32 v3, vcc, v61, v5, vcc
	v_add_co_u32_e32 v4, vcc, v54, v4
	v_mov_b32_e32 v8, 0x800
	v_addc_co_u32_e32 v5, vcc, v55, v5, vcc
	v_accvgpr_read_b32 v6, a29
	v_cndmask_b32_e64 v7, v8, v7, s[44:45]
	v_accvgpr_read_b32 v30, a24
	v_cndmask_b32_e64 v6, 0, v6, s[44:45]
	v_add_co_u32_e32 v0, vcc, v0, v7
	v_cndmask_b32_e64 v54, v54, v4, s[44:45]
	v_cndmask_b32_e64 v4, 0, v30, s[44:45]
	v_addc_co_u32_e32 v1, vcc, v1, v6, vcc
	v_sub_u32_e32 v52, v52, v4
	v_cmp_gt_i32_e32 vcc, 1, v52
	s_or_b64 s[20:21], vcc, s[20:21]
	s_andn2_b64 s[22:23], s[22:23], exec
	s_and_b64 vcc, s[44:45], exec
	v_cndmask_b32_e64 v3, v61, v3, s[44:45]
	v_cndmask_b32_e64 v2, v60, v2, s[44:45]
	;; [unrolled: 1-line block ×3, first 2 shown]
	s_or_b64 s[22:23], s[22:23], vcc
	s_andn2_b64 exec, exec, s[20:21]
	s_cbranch_execz .LBB8_816
.LBB8_684:                              ;   Parent Loop BB8_611 Depth=1
                                        ; =>  This Inner Loop Header: Depth=2
	global_load_dwordx4 v[48:51], v[2:3], off glc slc
	global_load_dwordx4 v[32:35], v[2:3], off offset:1024 glc slc
	global_load_dwordx4 v[36:39], v[54:55], off glc slc
	global_load_dwordx4 v[26:29], v[54:55], off offset:1024 glc slc
	v_accvgpr_write_b32 a24, v30
	s_and_saveexec_b64 s[46:47], s[44:45]
	s_cbranch_execz .LBB8_750
; %bb.685:                              ;   in Loop: Header=BB8_684 Depth=2
	v_lshlrev_b32_e32 v4, 16, v22
	v_lshlrev_b32_e32 v6, 16, v18
	v_pk_add_f32 v[60:61], v[4:5], v[6:7] op_sel_hi:[0,1]
	v_and_b32_e32 v4, 0x7f800000, v60
	v_cmp_ne_u32_e32 vcc, s65, v4
                                        ; implicit-def: $vgpr58
	s_and_saveexec_b64 s[44:45], vcc
	s_xor_b64 vcc, exec, s[44:45]
; %bb.686:                              ;   in Loop: Header=BB8_684 Depth=2
	v_bfe_u32 v4, v60, 16, 1
	v_add3_u32 v58, v60, v4, s66
                                        ; implicit-def: $vgpr60_vgpr61
; %bb.687:                              ;   in Loop: Header=BB8_684 Depth=2
	s_andn2_saveexec_b64 s[44:45], vcc
; %bb.688:                              ;   in Loop: Header=BB8_684 Depth=2
	v_or_b32_e32 v4, 0x10000, v60
	v_cmp_eq_u32_sdwa vcc, v60, v53 src0_sel:WORD_0 src1_sel:DWORD
	v_cndmask_b32_e32 v58, v4, v60, vcc
; %bb.689:                              ;   in Loop: Header=BB8_684 Depth=2
	s_or_b64 exec, exec, s[44:45]
	v_mov_b32_e32 v4, v18
	v_mov_b32_e32 v5, v22
	v_and_b32_e32 v6, 0xffff0000, v5
	v_and_b32_e32 v4, 0xffff0000, v4
	v_pk_add_f32 v[60:61], v[6:7], v[4:5] op_sel_hi:[0,1]
	v_and_b32_e32 v4, 0x7f800000, v60
	v_cmp_ne_u32_e32 vcc, s65, v4
                                        ; implicit-def: $vgpr59
	s_and_saveexec_b64 s[44:45], vcc
	s_xor_b64 vcc, exec, s[44:45]
; %bb.690:                              ;   in Loop: Header=BB8_684 Depth=2
	v_bfe_u32 v4, v60, 16, 1
	v_add3_u32 v59, v60, v4, s66
                                        ; implicit-def: $vgpr60_vgpr61
; %bb.691:                              ;   in Loop: Header=BB8_684 Depth=2
	s_andn2_saveexec_b64 s[44:45], vcc
; %bb.692:                              ;   in Loop: Header=BB8_684 Depth=2
	v_or_b32_e32 v4, 0x10000, v60
	v_cmp_eq_u32_sdwa vcc, v60, v53 src0_sel:WORD_0 src1_sel:DWORD
	v_cndmask_b32_e32 v59, v4, v60, vcc
; %bb.693:                              ;   in Loop: Header=BB8_684 Depth=2
	s_or_b64 exec, exec, s[44:45]
	v_lshlrev_b32_e32 v4, 16, v23
	v_lshlrev_b32_e32 v6, 16, v19
	v_pk_add_f32 v[60:61], v[4:5], v[6:7] op_sel_hi:[0,1]
	v_and_b32_e32 v4, 0x7f800000, v60
	v_cmp_ne_u32_e32 vcc, s65, v4
                                        ; implicit-def: $vgpr31
	s_and_saveexec_b64 s[44:45], vcc
	s_xor_b64 vcc, exec, s[44:45]
; %bb.694:                              ;   in Loop: Header=BB8_684 Depth=2
	v_bfe_u32 v4, v60, 16, 1
	v_add3_u32 v31, v60, v4, s66
                                        ; implicit-def: $vgpr60_vgpr61
; %bb.695:                              ;   in Loop: Header=BB8_684 Depth=2
	s_andn2_saveexec_b64 s[44:45], vcc
; %bb.696:                              ;   in Loop: Header=BB8_684 Depth=2
	v_or_b32_e32 v4, 0x10000, v60
	v_cmp_eq_u32_sdwa vcc, v60, v53 src0_sel:WORD_0 src1_sel:DWORD
	v_cndmask_b32_e32 v31, v4, v60, vcc
; %bb.697:                              ;   in Loop: Header=BB8_684 Depth=2
	s_or_b64 exec, exec, s[44:45]
	v_mov_b32_e32 v4, v19
	v_and_b32_e32 v6, 0xffff0000, v23
	v_and_b32_e32 v4, 0xffff0000, v4
	v_pk_add_f32 v[22:23], v[6:7], v[4:5] op_sel_hi:[0,1]
	v_and_b32_e32 v4, 0x7f800000, v22
	v_cmp_ne_u32_e32 vcc, s65, v4
                                        ; implicit-def: $vgpr60
	s_and_saveexec_b64 s[44:45], vcc
	s_xor_b64 vcc, exec, s[44:45]
; %bb.698:                              ;   in Loop: Header=BB8_684 Depth=2
	v_bfe_u32 v4, v22, 16, 1
	v_add3_u32 v60, v22, v4, s66
                                        ; implicit-def: $vgpr22_vgpr23
; %bb.699:                              ;   in Loop: Header=BB8_684 Depth=2
	s_andn2_saveexec_b64 s[44:45], vcc
; %bb.700:                              ;   in Loop: Header=BB8_684 Depth=2
	v_or_b32_e32 v4, 0x10000, v22
	v_cmp_eq_u32_sdwa vcc, v22, v53 src0_sel:WORD_0 src1_sel:DWORD
	v_cndmask_b32_e32 v60, v4, v22, vcc
; %bb.701:                              ;   in Loop: Header=BB8_684 Depth=2
	s_or_b64 exec, exec, s[44:45]
	v_lshlrev_b32_e32 v4, 16, v24
	v_lshlrev_b32_e32 v6, 16, v20
	v_pk_add_f32 v[22:23], v[4:5], v[6:7] op_sel_hi:[0,1]
	v_and_b32_e32 v4, 0x7f800000, v22
	v_cmp_ne_u32_e32 vcc, s65, v4
                                        ; implicit-def: $vgpr61
	s_and_saveexec_b64 s[44:45], vcc
	s_xor_b64 vcc, exec, s[44:45]
; %bb.702:                              ;   in Loop: Header=BB8_684 Depth=2
	v_bfe_u32 v4, v22, 16, 1
	v_add3_u32 v61, v22, v4, s66
                                        ; implicit-def: $vgpr22_vgpr23
; %bb.703:                              ;   in Loop: Header=BB8_684 Depth=2
	s_andn2_saveexec_b64 s[44:45], vcc
; %bb.704:                              ;   in Loop: Header=BB8_684 Depth=2
	v_or_b32_e32 v4, 0x10000, v22
	v_cmp_eq_u32_sdwa vcc, v22, v53 src0_sel:WORD_0 src1_sel:DWORD
	v_cndmask_b32_e32 v61, v4, v22, vcc
; %bb.705:                              ;   in Loop: Header=BB8_684 Depth=2
	s_or_b64 exec, exec, s[44:45]
	v_mov_b32_e32 v4, v20
	v_mov_b32_e32 v5, v24
	v_and_b32_e32 v6, 0xffff0000, v5
	v_and_b32_e32 v4, 0xffff0000, v4
	v_pk_add_f32 v[22:23], v[6:7], v[4:5] op_sel_hi:[0,1]
	v_and_b32_e32 v4, 0x7f800000, v22
	v_cmp_ne_u32_e32 vcc, s65, v4
                                        ; implicit-def: $vgpr24
	s_and_saveexec_b64 s[44:45], vcc
	s_xor_b64 vcc, exec, s[44:45]
; %bb.706:                              ;   in Loop: Header=BB8_684 Depth=2
	v_bfe_u32 v4, v22, 16, 1
	v_add3_u32 v24, v22, v4, s66
                                        ; implicit-def: $vgpr22_vgpr23
; %bb.707:                              ;   in Loop: Header=BB8_684 Depth=2
	s_andn2_saveexec_b64 s[44:45], vcc
; %bb.708:                              ;   in Loop: Header=BB8_684 Depth=2
	v_or_b32_e32 v4, 0x10000, v22
	v_cmp_eq_u32_sdwa vcc, v22, v53 src0_sel:WORD_0 src1_sel:DWORD
	v_cndmask_b32_e32 v24, v4, v22, vcc
; %bb.709:                              ;   in Loop: Header=BB8_684 Depth=2
	s_or_b64 exec, exec, s[44:45]
	v_lshlrev_b32_e32 v4, 16, v25
	v_lshlrev_b32_e32 v6, 16, v21
	v_pk_add_f32 v[22:23], v[4:5], v[6:7] op_sel_hi:[0,1]
	v_and_b32_e32 v4, 0x7f800000, v22
	v_cmp_ne_u32_e32 vcc, s65, v4
                                        ; implicit-def: $vgpr4
	s_and_saveexec_b64 s[44:45], vcc
	s_xor_b64 vcc, exec, s[44:45]
; %bb.710:                              ;   in Loop: Header=BB8_684 Depth=2
	v_bfe_u32 v4, v22, 16, 1
	v_add3_u32 v4, v22, v4, s66
                                        ; implicit-def: $vgpr22_vgpr23
; %bb.711:                              ;   in Loop: Header=BB8_684 Depth=2
	s_andn2_saveexec_b64 s[44:45], vcc
; %bb.712:                              ;   in Loop: Header=BB8_684 Depth=2
	v_or_b32_e32 v4, 0x10000, v22
	v_cmp_eq_u32_sdwa vcc, v22, v53 src0_sel:WORD_0 src1_sel:DWORD
	v_cndmask_b32_e32 v4, v4, v22, vcc
; %bb.713:                              ;   in Loop: Header=BB8_684 Depth=2
	s_or_b64 exec, exec, s[44:45]
	v_mov_b32_e32 v6, v21
	v_and_b32_e32 v8, 0xffff0000, v25
	v_and_b32_e32 v6, 0xffff0000, v6
	v_pk_add_f32 v[22:23], v[8:9], v[6:7] op_sel_hi:[0,1]
	v_and_b32_e32 v5, 0x7f800000, v22
	v_cmp_ne_u32_e32 vcc, s65, v5
                                        ; implicit-def: $vgpr25
	s_and_saveexec_b64 s[44:45], vcc
	s_xor_b64 vcc, exec, s[44:45]
; %bb.714:                              ;   in Loop: Header=BB8_684 Depth=2
	v_bfe_u32 v5, v22, 16, 1
	v_add3_u32 v25, v22, v5, s66
                                        ; implicit-def: $vgpr22_vgpr23
; %bb.715:                              ;   in Loop: Header=BB8_684 Depth=2
	s_andn2_saveexec_b64 s[44:45], vcc
; %bb.716:                              ;   in Loop: Header=BB8_684 Depth=2
	v_or_b32_e32 v5, 0x10000, v22
	v_cmp_eq_u32_sdwa vcc, v22, v53 src0_sel:WORD_0 src1_sel:DWORD
	v_cndmask_b32_e32 v25, v5, v22, vcc
; %bb.717:                              ;   in Loop: Header=BB8_684 Depth=2
	s_or_b64 exec, exec, s[44:45]
	v_lshlrev_b32_e32 v6, 16, v14
	v_lshlrev_b32_e32 v8, 16, v10
	v_pk_add_f32 v[22:23], v[6:7], v[8:9] op_sel_hi:[0,1]
	v_and_b32_e32 v5, 0x7f800000, v22
	v_cmp_ne_u32_e32 vcc, s65, v5
                                        ; implicit-def: $vgpr40
	s_and_saveexec_b64 s[44:45], vcc
	s_xor_b64 vcc, exec, s[44:45]
; %bb.718:                              ;   in Loop: Header=BB8_684 Depth=2
	v_bfe_u32 v5, v22, 16, 1
	v_add3_u32 v40, v22, v5, s66
                                        ; implicit-def: $vgpr22_vgpr23
; %bb.719:                              ;   in Loop: Header=BB8_684 Depth=2
	s_andn2_saveexec_b64 s[44:45], vcc
; %bb.720:                              ;   in Loop: Header=BB8_684 Depth=2
	v_or_b32_e32 v5, 0x10000, v22
	v_cmp_eq_u32_sdwa vcc, v22, v53 src0_sel:WORD_0 src1_sel:DWORD
	v_cndmask_b32_e32 v40, v5, v22, vcc
; %bb.721:                              ;   in Loop: Header=BB8_684 Depth=2
	s_or_b64 exec, exec, s[44:45]
	v_mov_b32_e32 v6, v10
	v_mov_b32_e32 v5, v14
	v_and_b32_e32 v8, 0xffff0000, v5
	v_and_b32_e32 v6, 0xffff0000, v6
	v_pk_add_f32 v[22:23], v[8:9], v[6:7] op_sel_hi:[0,1]
	v_and_b32_e32 v5, 0x7f800000, v22
	v_cmp_ne_u32_e32 vcc, s65, v5
                                        ; implicit-def: $vgpr41
	s_and_saveexec_b64 s[44:45], vcc
	s_xor_b64 vcc, exec, s[44:45]
; %bb.722:                              ;   in Loop: Header=BB8_684 Depth=2
	v_bfe_u32 v5, v22, 16, 1
	v_add3_u32 v41, v22, v5, s66
                                        ; implicit-def: $vgpr22_vgpr23
; %bb.723:                              ;   in Loop: Header=BB8_684 Depth=2
	s_andn2_saveexec_b64 s[44:45], vcc
; %bb.724:                              ;   in Loop: Header=BB8_684 Depth=2
	v_or_b32_e32 v5, 0x10000, v22
	v_cmp_eq_u32_sdwa vcc, v22, v53 src0_sel:WORD_0 src1_sel:DWORD
	v_cndmask_b32_e32 v41, v5, v22, vcc
; %bb.725:                              ;   in Loop: Header=BB8_684 Depth=2
	s_or_b64 exec, exec, s[44:45]
	v_lshlrev_b32_e32 v6, 16, v15
	v_lshlrev_b32_e32 v8, 16, v11
	v_pk_add_f32 v[22:23], v[6:7], v[8:9] op_sel_hi:[0,1]
	v_and_b32_e32 v5, 0x7f800000, v22
	v_cmp_ne_u32_e32 vcc, s65, v5
                                        ; implicit-def: $vgpr5
	s_and_saveexec_b64 s[44:45], vcc
	s_xor_b64 vcc, exec, s[44:45]
; %bb.726:                              ;   in Loop: Header=BB8_684 Depth=2
	v_bfe_u32 v5, v22, 16, 1
	v_add3_u32 v5, v22, v5, s66
                                        ; implicit-def: $vgpr22_vgpr23
; %bb.727:                              ;   in Loop: Header=BB8_684 Depth=2
	s_andn2_saveexec_b64 s[44:45], vcc
; %bb.728:                              ;   in Loop: Header=BB8_684 Depth=2
	v_or_b32_e32 v5, 0x10000, v22
	v_cmp_eq_u32_sdwa vcc, v22, v53 src0_sel:WORD_0 src1_sel:DWORD
	v_cndmask_b32_e32 v5, v5, v22, vcc
; %bb.729:                              ;   in Loop: Header=BB8_684 Depth=2
	s_or_b64 exec, exec, s[44:45]
	v_mov_b32_e32 v6, v11
	v_and_b32_e32 v8, 0xffff0000, v15
	v_and_b32_e32 v6, 0xffff0000, v6
	v_pk_add_f32 v[14:15], v[8:9], v[6:7] op_sel_hi:[0,1]
	v_and_b32_e32 v6, 0x7f800000, v14
	v_cmp_ne_u32_e32 vcc, s65, v6
                                        ; implicit-def: $vgpr57
	s_and_saveexec_b64 s[44:45], vcc
	s_xor_b64 vcc, exec, s[44:45]
; %bb.730:                              ;   in Loop: Header=BB8_684 Depth=2
	v_bfe_u32 v6, v14, 16, 1
	v_add3_u32 v57, v14, v6, s66
                                        ; implicit-def: $vgpr14_vgpr15
; %bb.731:                              ;   in Loop: Header=BB8_684 Depth=2
	s_andn2_saveexec_b64 s[44:45], vcc
; %bb.732:                              ;   in Loop: Header=BB8_684 Depth=2
	v_or_b32_e32 v6, 0x10000, v14
	v_cmp_eq_u32_sdwa vcc, v14, v53 src0_sel:WORD_0 src1_sel:DWORD
	v_cndmask_b32_e32 v57, v6, v14, vcc
; %bb.733:                              ;   in Loop: Header=BB8_684 Depth=2
	s_or_b64 exec, exec, s[44:45]
	v_lshlrev_b32_e32 v6, 16, v16
	v_lshlrev_b32_e32 v8, 16, v12
	v_pk_add_f32 v[14:15], v[6:7], v[8:9] op_sel_hi:[0,1]
	v_and_b32_e32 v6, 0x7f800000, v14
	v_cmp_ne_u32_e32 vcc, s65, v6
                                        ; implicit-def: $vgpr30
	s_and_saveexec_b64 s[44:45], vcc
	s_xor_b64 vcc, exec, s[44:45]
; %bb.734:                              ;   in Loop: Header=BB8_684 Depth=2
	v_bfe_u32 v6, v14, 16, 1
	v_add3_u32 v30, v14, v6, s66
                                        ; implicit-def: $vgpr14_vgpr15
; %bb.735:                              ;   in Loop: Header=BB8_684 Depth=2
	s_andn2_saveexec_b64 s[44:45], vcc
; %bb.736:                              ;   in Loop: Header=BB8_684 Depth=2
	v_or_b32_e32 v6, 0x10000, v14
	v_cmp_eq_u32_sdwa vcc, v14, v53 src0_sel:WORD_0 src1_sel:DWORD
	v_cndmask_b32_e32 v30, v6, v14, vcc
; %bb.737:                              ;   in Loop: Header=BB8_684 Depth=2
	s_or_b64 exec, exec, s[44:45]
	v_mov_b32_e32 v6, v12
	v_mov_b32_e32 v7, v16
	v_and_b32_e32 v8, 0xffff0000, v7
	v_and_b32_e32 v6, 0xffff0000, v6
	v_pk_add_f32 v[14:15], v[8:9], v[6:7] op_sel_hi:[0,1]
	v_and_b32_e32 v6, 0x7f800000, v14
	v_cmp_ne_u32_e32 vcc, s65, v6
                                        ; implicit-def: $vgpr16
	s_and_saveexec_b64 s[44:45], vcc
	s_xor_b64 vcc, exec, s[44:45]
; %bb.738:                              ;   in Loop: Header=BB8_684 Depth=2
	v_bfe_u32 v6, v14, 16, 1
	v_add3_u32 v16, v14, v6, s66
                                        ; implicit-def: $vgpr14_vgpr15
; %bb.739:                              ;   in Loop: Header=BB8_684 Depth=2
	s_andn2_saveexec_b64 s[44:45], vcc
; %bb.740:                              ;   in Loop: Header=BB8_684 Depth=2
	v_or_b32_e32 v6, 0x10000, v14
	v_cmp_eq_u32_sdwa vcc, v14, v53 src0_sel:WORD_0 src1_sel:DWORD
	v_cndmask_b32_e32 v16, v6, v14, vcc
; %bb.741:                              ;   in Loop: Header=BB8_684 Depth=2
	s_or_b64 exec, exec, s[44:45]
	v_lshlrev_b32_e32 v6, 16, v17
	v_lshlrev_b32_e32 v8, 16, v13
	v_pk_add_f32 v[14:15], v[6:7], v[8:9] op_sel_hi:[0,1]
	v_and_b32_e32 v6, 0x7f800000, v14
	v_cmp_ne_u32_e32 vcc, s65, v6
                                        ; implicit-def: $vgpr6
	s_and_saveexec_b64 s[44:45], vcc
	s_xor_b64 vcc, exec, s[44:45]
; %bb.742:                              ;   in Loop: Header=BB8_684 Depth=2
	v_bfe_u32 v6, v14, 16, 1
	v_add3_u32 v6, v14, v6, s66
                                        ; implicit-def: $vgpr14_vgpr15
; %bb.743:                              ;   in Loop: Header=BB8_684 Depth=2
	s_andn2_saveexec_b64 s[44:45], vcc
; %bb.744:                              ;   in Loop: Header=BB8_684 Depth=2
	v_or_b32_e32 v6, 0x10000, v14
	v_cmp_eq_u32_sdwa vcc, v14, v53 src0_sel:WORD_0 src1_sel:DWORD
	v_cndmask_b32_e32 v6, v6, v14, vcc
; %bb.745:                              ;   in Loop: Header=BB8_684 Depth=2
	s_or_b64 exec, exec, s[44:45]
	v_mov_b32_e32 v8, v13
	v_and_b32_e32 v14, 0xffff0000, v17
	v_and_b32_e32 v8, 0xffff0000, v8
	v_pk_add_f32 v[14:15], v[14:15], v[8:9] op_sel_hi:[0,1]
	v_and_b32_e32 v7, 0x7f800000, v14
	v_cmp_ne_u32_e32 vcc, s65, v7
                                        ; implicit-def: $vgpr7
	s_and_saveexec_b64 s[44:45], vcc
	s_xor_b64 vcc, exec, s[44:45]
; %bb.746:                              ;   in Loop: Header=BB8_684 Depth=2
	v_bfe_u32 v7, v14, 16, 1
	v_add3_u32 v7, v14, v7, s66
                                        ; implicit-def: $vgpr14_vgpr15
; %bb.747:                              ;   in Loop: Header=BB8_684 Depth=2
	s_andn2_saveexec_b64 s[44:45], vcc
; %bb.748:                              ;   in Loop: Header=BB8_684 Depth=2
	v_or_b32_e32 v7, 0x10000, v14
	v_cmp_eq_u32_sdwa vcc, v14, v53 src0_sel:WORD_0 src1_sel:DWORD
	v_cndmask_b32_e32 v7, v7, v14, vcc
; %bb.749:                              ;   in Loop: Header=BB8_684 Depth=2
	s_or_b64 exec, exec, s[44:45]
	v_lshrrev_b32_e32 v4, 16, v4
	v_and_or_b32 v25, v25, s67, v4
	v_lshrrev_b32_e32 v4, 16, v5
	v_lshrrev_b32_e32 v8, 16, v31
	v_and_or_b32 v15, v57, s67, v4
	v_lshrrev_b32_e32 v4, 16, v40
	v_and_or_b32 v23, v60, s67, v8
	;; [unrolled: 2-line block ×6, first 2 shown]
	v_and_or_b32 v17, v7, s67, v4
	v_accvgpr_read_b32 v4, a27
	global_store_dwordx4 v[0:1], v[22:25], off glc slc
	global_store_dwordx4 v[0:1], v[14:17], off offset:1024 glc slc
	v_add_co_u32_e32 v0, vcc, v0, v4
	v_accvgpr_read_b32 v4, a29
	v_addc_co_u32_e32 v1, vcc, v1, v4, vcc
.LBB8_750:                              ;   in Loop: Header=BB8_684 Depth=2
	s_or_b64 exec, exec, s[46:47]
	v_accvgpr_read_b32 v4, a27
	v_add_co_u32_e32 v60, vcc, v2, v4
	v_accvgpr_read_b32 v2, a29
	v_addc_co_u32_e32 v61, vcc, v3, v2, vcc
	v_add_co_u32_e32 v54, vcc, v54, v4
	v_addc_co_u32_e32 v55, vcc, v55, v2, vcc
	v_accvgpr_read_b32 v2, a24
	v_sub_u32_e32 v52, v52, v2
	v_cmp_lt_i32_e64 s[44:45], 0, v52
	s_and_saveexec_b64 s[46:47], s[44:45]
	s_cbranch_execz .LBB8_752
; %bb.751:                              ;   in Loop: Header=BB8_684 Depth=2
	global_load_dwordx4 v[22:25], v[60:61], off glc slc
	global_load_dwordx4 v[14:17], v[60:61], off offset:1024 glc slc
	global_load_dwordx4 v[18:21], v[54:55], off glc slc
	global_load_dwordx4 v[10:13], v[54:55], off offset:1024 glc slc
	v_add_co_u32_e32 v60, vcc, s61, v60
	v_addc_co_u32_e32 v61, vcc, 0, v61, vcc
	v_add_co_u32_e32 v54, vcc, 0x800, v54
	v_addc_co_u32_e32 v55, vcc, 0, v55, vcc
.LBB8_752:                              ;   in Loop: Header=BB8_684 Depth=2
	s_or_b64 exec, exec, s[46:47]
	s_waitcnt vmcnt(0)
	v_lshlrev_b32_e32 v2, 16, v36
	v_lshlrev_b32_e32 v4, 16, v48
	v_pk_add_f32 v[2:3], v[2:3], v[4:5] op_sel_hi:[0,1]
	v_and_b32_e32 v3, 0x7f800000, v2
	v_cmp_ne_u32_e32 vcc, s65, v3
                                        ; implicit-def: $vgpr58
	s_and_saveexec_b64 s[46:47], vcc
	s_xor_b64 vcc, exec, s[46:47]
; %bb.753:                              ;   in Loop: Header=BB8_684 Depth=2
	v_bfe_u32 v3, v2, 16, 1
	v_add3_u32 v58, v2, v3, s66
                                        ; implicit-def: $vgpr2_vgpr3
; %bb.754:                              ;   in Loop: Header=BB8_684 Depth=2
	s_andn2_saveexec_b64 s[46:47], vcc
; %bb.755:                              ;   in Loop: Header=BB8_684 Depth=2
	v_or_b32_e32 v3, 0x10000, v2
	v_cmp_eq_u32_sdwa vcc, v2, v53 src0_sel:WORD_0 src1_sel:DWORD
	v_cndmask_b32_e32 v58, v3, v2, vcc
; %bb.756:                              ;   in Loop: Header=BB8_684 Depth=2
	s_or_b64 exec, exec, s[46:47]
	v_and_b32_e32 v2, 0xffff0000, v36
	v_and_b32_e32 v4, 0xffff0000, v48
	v_pk_add_f32 v[2:3], v[2:3], v[4:5] op_sel_hi:[0,1]
	v_and_b32_e32 v3, 0x7f800000, v2
	v_cmp_ne_u32_e32 vcc, s65, v3
                                        ; implicit-def: $vgpr48
	s_and_saveexec_b64 s[46:47], vcc
	s_xor_b64 vcc, exec, s[46:47]
; %bb.757:                              ;   in Loop: Header=BB8_684 Depth=2
	v_bfe_u32 v3, v2, 16, 1
	v_add3_u32 v48, v2, v3, s66
                                        ; implicit-def: $vgpr2_vgpr3
; %bb.758:                              ;   in Loop: Header=BB8_684 Depth=2
	s_andn2_saveexec_b64 s[46:47], vcc
; %bb.759:                              ;   in Loop: Header=BB8_684 Depth=2
	v_or_b32_e32 v3, 0x10000, v2
	v_cmp_eq_u32_sdwa vcc, v2, v53 src0_sel:WORD_0 src1_sel:DWORD
	v_cndmask_b32_e32 v48, v3, v2, vcc
; %bb.760:                              ;   in Loop: Header=BB8_684 Depth=2
	s_or_b64 exec, exec, s[46:47]
	v_mov_b32_e32 v3, v37
	v_lshlrev_b32_e32 v2, 16, v3
	v_lshlrev_b32_e32 v4, 16, v49
	v_pk_add_f32 v[36:37], v[2:3], v[4:5] op_sel_hi:[0,1]
	v_and_b32_e32 v2, 0x7f800000, v36
	v_cmp_ne_u32_e32 vcc, s65, v2
                                        ; implicit-def: $vgpr31
	s_and_saveexec_b64 s[46:47], vcc
	s_xor_b64 vcc, exec, s[46:47]
; %bb.761:                              ;   in Loop: Header=BB8_684 Depth=2
	v_bfe_u32 v2, v36, 16, 1
	v_add3_u32 v31, v36, v2, s66
                                        ; implicit-def: $vgpr36_vgpr37
; %bb.762:                              ;   in Loop: Header=BB8_684 Depth=2
	s_andn2_saveexec_b64 s[46:47], vcc
; %bb.763:                              ;   in Loop: Header=BB8_684 Depth=2
	v_or_b32_e32 v2, 0x10000, v36
	v_cmp_eq_u32_sdwa vcc, v36, v53 src0_sel:WORD_0 src1_sel:DWORD
	v_cndmask_b32_e32 v31, v2, v36, vcc
; %bb.764:                              ;   in Loop: Header=BB8_684 Depth=2
	s_or_b64 exec, exec, s[46:47]
	v_and_b32_e32 v2, 0xffff0000, v3
	v_and_b32_e32 v4, 0xffff0000, v49
	v_pk_add_f32 v[2:3], v[2:3], v[4:5] op_sel_hi:[0,1]
	v_and_b32_e32 v3, 0x7f800000, v2
	v_cmp_ne_u32_e32 vcc, s65, v3
                                        ; implicit-def: $vgpr49
	s_and_saveexec_b64 s[46:47], vcc
	s_xor_b64 vcc, exec, s[46:47]
; %bb.765:                              ;   in Loop: Header=BB8_684 Depth=2
	v_bfe_u32 v3, v2, 16, 1
	v_add3_u32 v49, v2, v3, s66
                                        ; implicit-def: $vgpr2_vgpr3
; %bb.766:                              ;   in Loop: Header=BB8_684 Depth=2
	s_andn2_saveexec_b64 s[46:47], vcc
; %bb.767:                              ;   in Loop: Header=BB8_684 Depth=2
	v_or_b32_e32 v3, 0x10000, v2
	v_cmp_eq_u32_sdwa vcc, v2, v53 src0_sel:WORD_0 src1_sel:DWORD
	v_cndmask_b32_e32 v49, v3, v2, vcc
; %bb.768:                              ;   in Loop: Header=BB8_684 Depth=2
	s_or_b64 exec, exec, s[46:47]
	v_lshlrev_b32_e32 v2, 16, v38
	v_lshlrev_b32_e32 v4, 16, v50
	v_pk_add_f32 v[2:3], v[2:3], v[4:5] op_sel_hi:[0,1]
	v_and_b32_e32 v3, 0x7f800000, v2
	v_cmp_ne_u32_e32 vcc, s65, v3
                                        ; implicit-def: $vgpr59
	s_and_saveexec_b64 s[46:47], vcc
	s_xor_b64 vcc, exec, s[46:47]
; %bb.769:                              ;   in Loop: Header=BB8_684 Depth=2
	v_bfe_u32 v3, v2, 16, 1
	v_add3_u32 v59, v2, v3, s66
                                        ; implicit-def: $vgpr2_vgpr3
; %bb.770:                              ;   in Loop: Header=BB8_684 Depth=2
	s_andn2_saveexec_b64 s[46:47], vcc
; %bb.771:                              ;   in Loop: Header=BB8_684 Depth=2
	v_or_b32_e32 v3, 0x10000, v2
	v_cmp_eq_u32_sdwa vcc, v2, v53 src0_sel:WORD_0 src1_sel:DWORD
	v_cndmask_b32_e32 v59, v3, v2, vcc
; %bb.772:                              ;   in Loop: Header=BB8_684 Depth=2
	s_or_b64 exec, exec, s[46:47]
	v_and_b32_e32 v2, 0xffff0000, v38
	v_and_b32_e32 v4, 0xffff0000, v50
	v_pk_add_f32 v[2:3], v[2:3], v[4:5] op_sel_hi:[0,1]
	v_and_b32_e32 v3, 0x7f800000, v2
	v_cmp_ne_u32_e32 vcc, s65, v3
                                        ; implicit-def: $vgpr38
	s_and_saveexec_b64 s[46:47], vcc
	s_xor_b64 vcc, exec, s[46:47]
; %bb.773:                              ;   in Loop: Header=BB8_684 Depth=2
	v_bfe_u32 v3, v2, 16, 1
	v_add3_u32 v38, v2, v3, s66
                                        ; implicit-def: $vgpr2_vgpr3
; %bb.774:                              ;   in Loop: Header=BB8_684 Depth=2
	s_andn2_saveexec_b64 s[46:47], vcc
; %bb.775:                              ;   in Loop: Header=BB8_684 Depth=2
	v_or_b32_e32 v3, 0x10000, v2
	v_cmp_eq_u32_sdwa vcc, v2, v53 src0_sel:WORD_0 src1_sel:DWORD
	v_cndmask_b32_e32 v38, v3, v2, vcc
; %bb.776:                              ;   in Loop: Header=BB8_684 Depth=2
	s_or_b64 exec, exec, s[46:47]
	v_mov_b32_e32 v3, v51
	v_lshlrev_b32_e32 v2, 16, v39
	v_lshlrev_b32_e32 v4, 16, v3
	v_pk_add_f32 v[36:37], v[2:3], v[4:5] op_sel_hi:[0,1]
	v_and_b32_e32 v2, 0x7f800000, v36
	v_cmp_ne_u32_e32 vcc, s65, v2
                                        ; implicit-def: $vgpr4
	s_and_saveexec_b64 s[46:47], vcc
	s_xor_b64 vcc, exec, s[46:47]
; %bb.777:                              ;   in Loop: Header=BB8_684 Depth=2
	v_bfe_u32 v2, v36, 16, 1
	v_add3_u32 v4, v36, v2, s66
                                        ; implicit-def: $vgpr36_vgpr37
; %bb.778:                              ;   in Loop: Header=BB8_684 Depth=2
	s_andn2_saveexec_b64 s[46:47], vcc
; %bb.779:                              ;   in Loop: Header=BB8_684 Depth=2
	v_or_b32_e32 v2, 0x10000, v36
	v_cmp_eq_u32_sdwa vcc, v36, v53 src0_sel:WORD_0 src1_sel:DWORD
	v_cndmask_b32_e32 v4, v2, v36, vcc
; %bb.780:                              ;   in Loop: Header=BB8_684 Depth=2
	s_or_b64 exec, exec, s[46:47]
	v_and_b32_e32 v2, 0xffff0000, v39
	v_and_b32_e32 v6, 0xffff0000, v3
	v_pk_add_f32 v[2:3], v[2:3], v[6:7] op_sel_hi:[0,1]
	v_and_b32_e32 v3, 0x7f800000, v2
	v_cmp_ne_u32_e32 vcc, s65, v3
                                        ; implicit-def: $vgpr36
	s_and_saveexec_b64 s[46:47], vcc
	s_xor_b64 vcc, exec, s[46:47]
; %bb.781:                              ;   in Loop: Header=BB8_684 Depth=2
	v_bfe_u32 v3, v2, 16, 1
	v_add3_u32 v36, v2, v3, s66
                                        ; implicit-def: $vgpr2_vgpr3
; %bb.782:                              ;   in Loop: Header=BB8_684 Depth=2
	s_andn2_saveexec_b64 s[46:47], vcc
; %bb.783:                              ;   in Loop: Header=BB8_684 Depth=2
	v_or_b32_e32 v3, 0x10000, v2
	v_cmp_eq_u32_sdwa vcc, v2, v53 src0_sel:WORD_0 src1_sel:DWORD
	v_cndmask_b32_e32 v36, v3, v2, vcc
; %bb.784:                              ;   in Loop: Header=BB8_684 Depth=2
	s_or_b64 exec, exec, s[46:47]
	s_waitcnt vmcnt(0)
	v_lshlrev_b32_e32 v2, 16, v26
	v_lshlrev_b32_e32 v6, 16, v32
	v_pk_add_f32 v[2:3], v[2:3], v[6:7] op_sel_hi:[0,1]
	v_and_b32_e32 v3, 0x7f800000, v2
	v_cmp_ne_u32_e32 vcc, s65, v3
                                        ; implicit-def: $vgpr37
	s_and_saveexec_b64 s[46:47], vcc
	s_xor_b64 vcc, exec, s[46:47]
; %bb.785:                              ;   in Loop: Header=BB8_684 Depth=2
	v_bfe_u32 v3, v2, 16, 1
	v_add3_u32 v37, v2, v3, s66
                                        ; implicit-def: $vgpr2_vgpr3
; %bb.786:                              ;   in Loop: Header=BB8_684 Depth=2
	s_andn2_saveexec_b64 s[46:47], vcc
; %bb.787:                              ;   in Loop: Header=BB8_684 Depth=2
	v_or_b32_e32 v3, 0x10000, v2
	v_cmp_eq_u32_sdwa vcc, v2, v53 src0_sel:WORD_0 src1_sel:DWORD
	v_cndmask_b32_e32 v37, v3, v2, vcc
; %bb.788:                              ;   in Loop: Header=BB8_684 Depth=2
	s_or_b64 exec, exec, s[46:47]
	v_and_b32_e32 v2, 0xffff0000, v26
	v_and_b32_e32 v6, 0xffff0000, v32
	v_pk_add_f32 v[2:3], v[2:3], v[6:7] op_sel_hi:[0,1]
	v_and_b32_e32 v3, 0x7f800000, v2
	v_cmp_ne_u32_e32 vcc, s65, v3
                                        ; implicit-def: $vgpr32
	s_and_saveexec_b64 s[46:47], vcc
	s_xor_b64 vcc, exec, s[46:47]
; %bb.789:                              ;   in Loop: Header=BB8_684 Depth=2
	v_bfe_u32 v3, v2, 16, 1
	v_add3_u32 v32, v2, v3, s66
                                        ; implicit-def: $vgpr2_vgpr3
; %bb.790:                              ;   in Loop: Header=BB8_684 Depth=2
	s_andn2_saveexec_b64 s[46:47], vcc
; %bb.791:                              ;   in Loop: Header=BB8_684 Depth=2
	v_or_b32_e32 v3, 0x10000, v2
	v_cmp_eq_u32_sdwa vcc, v2, v53 src0_sel:WORD_0 src1_sel:DWORD
	v_cndmask_b32_e32 v32, v3, v2, vcc
; %bb.792:                              ;   in Loop: Header=BB8_684 Depth=2
	s_or_b64 exec, exec, s[46:47]
	v_mov_b32_e32 v3, v27
	v_lshlrev_b32_e32 v2, 16, v3
	v_lshlrev_b32_e32 v6, 16, v33
	v_pk_add_f32 v[26:27], v[2:3], v[6:7] op_sel_hi:[0,1]
	v_and_b32_e32 v2, 0x7f800000, v26
	v_cmp_ne_u32_e32 vcc, s65, v2
                                        ; implicit-def: $vgpr5
	s_and_saveexec_b64 s[46:47], vcc
	s_xor_b64 vcc, exec, s[46:47]
; %bb.793:                              ;   in Loop: Header=BB8_684 Depth=2
	v_bfe_u32 v2, v26, 16, 1
	v_add3_u32 v5, v26, v2, s66
                                        ; implicit-def: $vgpr26_vgpr27
; %bb.794:                              ;   in Loop: Header=BB8_684 Depth=2
	s_andn2_saveexec_b64 s[46:47], vcc
; %bb.795:                              ;   in Loop: Header=BB8_684 Depth=2
	v_or_b32_e32 v2, 0x10000, v26
	v_cmp_eq_u32_sdwa vcc, v26, v53 src0_sel:WORD_0 src1_sel:DWORD
	v_cndmask_b32_e32 v5, v2, v26, vcc
; %bb.796:                              ;   in Loop: Header=BB8_684 Depth=2
	s_or_b64 exec, exec, s[46:47]
	v_and_b32_e32 v2, 0xffff0000, v3
	v_and_b32_e32 v6, 0xffff0000, v33
	v_pk_add_f32 v[2:3], v[2:3], v[6:7] op_sel_hi:[0,1]
	v_and_b32_e32 v3, 0x7f800000, v2
	v_cmp_ne_u32_e32 vcc, s65, v3
                                        ; implicit-def: $vgpr33
	s_and_saveexec_b64 s[46:47], vcc
	s_xor_b64 vcc, exec, s[46:47]
; %bb.797:                              ;   in Loop: Header=BB8_684 Depth=2
	v_bfe_u32 v3, v2, 16, 1
	v_add3_u32 v33, v2, v3, s66
                                        ; implicit-def: $vgpr2_vgpr3
; %bb.798:                              ;   in Loop: Header=BB8_684 Depth=2
	s_andn2_saveexec_b64 s[46:47], vcc
; %bb.799:                              ;   in Loop: Header=BB8_684 Depth=2
	v_or_b32_e32 v3, 0x10000, v2
	v_cmp_eq_u32_sdwa vcc, v2, v53 src0_sel:WORD_0 src1_sel:DWORD
	v_cndmask_b32_e32 v33, v3, v2, vcc
; %bb.800:                              ;   in Loop: Header=BB8_684 Depth=2
	s_or_b64 exec, exec, s[46:47]
	v_lshlrev_b32_e32 v2, 16, v28
	v_lshlrev_b32_e32 v6, 16, v34
	v_pk_add_f32 v[2:3], v[2:3], v[6:7] op_sel_hi:[0,1]
	v_and_b32_e32 v3, 0x7f800000, v2
	v_cmp_ne_u32_e32 vcc, s65, v3
                                        ; implicit-def: $vgpr30
	s_and_saveexec_b64 s[46:47], vcc
	s_xor_b64 vcc, exec, s[46:47]
; %bb.801:                              ;   in Loop: Header=BB8_684 Depth=2
	v_bfe_u32 v3, v2, 16, 1
	v_add3_u32 v30, v2, v3, s66
                                        ; implicit-def: $vgpr2_vgpr3
; %bb.802:                              ;   in Loop: Header=BB8_684 Depth=2
	s_andn2_saveexec_b64 s[46:47], vcc
; %bb.803:                              ;   in Loop: Header=BB8_684 Depth=2
	v_or_b32_e32 v3, 0x10000, v2
	v_cmp_eq_u32_sdwa vcc, v2, v53 src0_sel:WORD_0 src1_sel:DWORD
	v_cndmask_b32_e32 v30, v3, v2, vcc
; %bb.804:                              ;   in Loop: Header=BB8_684 Depth=2
	s_or_b64 exec, exec, s[46:47]
	v_and_b32_e32 v2, 0xffff0000, v28
	v_and_b32_e32 v6, 0xffff0000, v34
	v_pk_add_f32 v[2:3], v[2:3], v[6:7] op_sel_hi:[0,1]
	v_and_b32_e32 v3, 0x7f800000, v2
	v_cmp_ne_u32_e32 vcc, s65, v3
                                        ; implicit-def: $vgpr28
	s_and_saveexec_b64 s[46:47], vcc
	s_xor_b64 vcc, exec, s[46:47]
; %bb.805:                              ;   in Loop: Header=BB8_684 Depth=2
	v_bfe_u32 v3, v2, 16, 1
	v_add3_u32 v28, v2, v3, s66
                                        ; implicit-def: $vgpr2_vgpr3
; %bb.806:                              ;   in Loop: Header=BB8_684 Depth=2
	s_andn2_saveexec_b64 s[46:47], vcc
; %bb.807:                              ;   in Loop: Header=BB8_684 Depth=2
	v_or_b32_e32 v3, 0x10000, v2
	v_cmp_eq_u32_sdwa vcc, v2, v53 src0_sel:WORD_0 src1_sel:DWORD
	v_cndmask_b32_e32 v28, v3, v2, vcc
; %bb.808:                              ;   in Loop: Header=BB8_684 Depth=2
	s_or_b64 exec, exec, s[46:47]
	v_mov_b32_e32 v3, v35
	v_lshlrev_b32_e32 v2, 16, v29
	v_lshlrev_b32_e32 v6, 16, v3
	v_pk_add_f32 v[26:27], v[2:3], v[6:7] op_sel_hi:[0,1]
	v_and_b32_e32 v2, 0x7f800000, v26
	v_cmp_ne_u32_e32 vcc, s65, v2
                                        ; implicit-def: $vgpr6
	s_and_saveexec_b64 s[46:47], vcc
	s_xor_b64 vcc, exec, s[46:47]
; %bb.809:                              ;   in Loop: Header=BB8_684 Depth=2
	v_bfe_u32 v2, v26, 16, 1
	v_add3_u32 v6, v26, v2, s66
                                        ; implicit-def: $vgpr26_vgpr27
; %bb.810:                              ;   in Loop: Header=BB8_684 Depth=2
	s_andn2_saveexec_b64 s[46:47], vcc
; %bb.811:                              ;   in Loop: Header=BB8_684 Depth=2
	v_or_b32_e32 v2, 0x10000, v26
	v_cmp_eq_u32_sdwa vcc, v26, v53 src0_sel:WORD_0 src1_sel:DWORD
	v_cndmask_b32_e32 v6, v2, v26, vcc
; %bb.812:                              ;   in Loop: Header=BB8_684 Depth=2
	s_or_b64 exec, exec, s[46:47]
	v_and_b32_e32 v2, 0xffff0000, v29
	v_and_b32_e32 v8, 0xffff0000, v3
	v_pk_add_f32 v[2:3], v[2:3], v[8:9] op_sel_hi:[0,1]
	v_and_b32_e32 v3, 0x7f800000, v2
	v_cmp_ne_u32_e32 vcc, s65, v3
                                        ; implicit-def: $vgpr7
	s_and_saveexec_b64 s[46:47], vcc
	s_xor_b64 vcc, exec, s[46:47]
; %bb.813:                              ;   in Loop: Header=BB8_684 Depth=2
	v_bfe_u32 v3, v2, 16, 1
	v_add3_u32 v7, v2, v3, s66
                                        ; implicit-def: $vgpr2_vgpr3
; %bb.814:                              ;   in Loop: Header=BB8_684 Depth=2
	s_andn2_saveexec_b64 s[46:47], vcc
	s_cbranch_execz .LBB8_683
; %bb.815:                              ;   in Loop: Header=BB8_684 Depth=2
	v_or_b32_e32 v3, 0x10000, v2
	v_cmp_eq_u32_sdwa vcc, v2, v53 src0_sel:WORD_0 src1_sel:DWORD
	v_cndmask_b32_e32 v7, v3, v2, vcc
	s_branch .LBB8_683
.LBB8_816:                              ;   in Loop: Header=BB8_611 Depth=1
	s_or_b64 exec, exec, s[20:21]
	v_accvgpr_read_b32 v35, a23
	s_and_b64 s[20:21], s[22:23], exec
	v_accvgpr_read_b32 v34, a22
	v_mov_b32_e32 v33, v9
	v_accvgpr_read_b32 v36, a3
	v_accvgpr_read_b32 v38, a26
	;; [unrolled: 1-line block ×13, first 2 shown]
.LBB8_817:                              ;   in Loop: Header=BB8_611 Depth=1
	s_or_b64 exec, exec, s[18:19]
	s_and_saveexec_b64 s[18:19], s[20:21]
	s_cbranch_execz .LBB8_883
; %bb.818:                              ;   in Loop: Header=BB8_611 Depth=1
	v_lshlrev_b32_e32 v2, 16, v22
	v_lshlrev_b32_e32 v4, 16, v18
	v_pk_add_f32 v[2:3], v[2:3], v[4:5] op_sel_hi:[0,1]
	v_and_b32_e32 v3, 0x7f800000, v2
	v_cmp_ne_u32_e32 vcc, s65, v3
                                        ; implicit-def: $vgpr26
	s_and_saveexec_b64 s[20:21], vcc
	s_xor_b64 s[20:21], exec, s[20:21]
; %bb.819:                              ;   in Loop: Header=BB8_611 Depth=1
	v_bfe_u32 v3, v2, 16, 1
	v_add3_u32 v26, v2, v3, s66
                                        ; implicit-def: $vgpr2_vgpr3
; %bb.820:                              ;   in Loop: Header=BB8_611 Depth=1
	s_andn2_saveexec_b64 s[20:21], s[20:21]
; %bb.821:                              ;   in Loop: Header=BB8_611 Depth=1
	v_or_b32_e32 v3, 0x10000, v2
	v_cmp_eq_u32_sdwa vcc, v2, v53 src0_sel:WORD_0 src1_sel:DWORD
	v_cndmask_b32_e32 v26, v3, v2, vcc
; %bb.822:                              ;   in Loop: Header=BB8_611 Depth=1
	s_or_b64 exec, exec, s[20:21]
	v_mov_b32_e32 v2, v18
	v_mov_b32_e32 v3, v22
	v_and_b32_e32 v4, 0xffff0000, v3
	v_and_b32_e32 v2, 0xffff0000, v2
	v_pk_add_f32 v[2:3], v[4:5], v[2:3] op_sel_hi:[0,1]
	v_and_b32_e32 v3, 0x7f800000, v2
	v_cmp_ne_u32_e32 vcc, s65, v3
                                        ; implicit-def: $vgpr18
	s_and_saveexec_b64 s[20:21], vcc
	s_xor_b64 s[20:21], exec, s[20:21]
; %bb.823:                              ;   in Loop: Header=BB8_611 Depth=1
	v_bfe_u32 v3, v2, 16, 1
	v_add3_u32 v18, v2, v3, s66
                                        ; implicit-def: $vgpr2_vgpr3
; %bb.824:                              ;   in Loop: Header=BB8_611 Depth=1
	s_andn2_saveexec_b64 s[20:21], s[20:21]
; %bb.825:                              ;   in Loop: Header=BB8_611 Depth=1
	v_or_b32_e32 v3, 0x10000, v2
	v_cmp_eq_u32_sdwa vcc, v2, v53 src0_sel:WORD_0 src1_sel:DWORD
	v_cndmask_b32_e32 v18, v3, v2, vcc
; %bb.826:                              ;   in Loop: Header=BB8_611 Depth=1
	s_or_b64 exec, exec, s[20:21]
	v_lshlrev_b32_e32 v2, 16, v23
	v_lshlrev_b32_e32 v4, 16, v19
	v_pk_add_f32 v[2:3], v[2:3], v[4:5] op_sel_hi:[0,1]
	v_and_b32_e32 v3, 0x7f800000, v2
	v_cmp_ne_u32_e32 vcc, s65, v3
                                        ; implicit-def: $vgpr22
	s_and_saveexec_b64 s[20:21], vcc
	s_xor_b64 s[20:21], exec, s[20:21]
; %bb.827:                              ;   in Loop: Header=BB8_611 Depth=1
	v_bfe_u32 v3, v2, 16, 1
	v_add3_u32 v22, v2, v3, s66
                                        ; implicit-def: $vgpr2_vgpr3
; %bb.828:                              ;   in Loop: Header=BB8_611 Depth=1
	s_andn2_saveexec_b64 s[20:21], s[20:21]
; %bb.829:                              ;   in Loop: Header=BB8_611 Depth=1
	v_or_b32_e32 v3, 0x10000, v2
	v_cmp_eq_u32_sdwa vcc, v2, v53 src0_sel:WORD_0 src1_sel:DWORD
	v_cndmask_b32_e32 v22, v3, v2, vcc
; %bb.830:                              ;   in Loop: Header=BB8_611 Depth=1
	s_or_b64 exec, exec, s[20:21]
	v_mov_b32_e32 v2, v19
	v_and_b32_e32 v4, 0xffff0000, v23
	v_and_b32_e32 v2, 0xffff0000, v2
	v_pk_add_f32 v[2:3], v[4:5], v[2:3] op_sel_hi:[0,1]
	v_and_b32_e32 v3, 0x7f800000, v2
	v_cmp_ne_u32_e32 vcc, s65, v3
                                        ; implicit-def: $vgpr19
	s_and_saveexec_b64 s[20:21], vcc
	s_xor_b64 s[20:21], exec, s[20:21]
; %bb.831:                              ;   in Loop: Header=BB8_611 Depth=1
	v_bfe_u32 v3, v2, 16, 1
	v_add3_u32 v19, v2, v3, s66
                                        ; implicit-def: $vgpr2_vgpr3
; %bb.832:                              ;   in Loop: Header=BB8_611 Depth=1
	s_andn2_saveexec_b64 s[20:21], s[20:21]
; %bb.833:                              ;   in Loop: Header=BB8_611 Depth=1
	v_or_b32_e32 v3, 0x10000, v2
	v_cmp_eq_u32_sdwa vcc, v2, v53 src0_sel:WORD_0 src1_sel:DWORD
	v_cndmask_b32_e32 v19, v3, v2, vcc
; %bb.834:                              ;   in Loop: Header=BB8_611 Depth=1
	s_or_b64 exec, exec, s[20:21]
	v_lshlrev_b32_e32 v2, 16, v24
	v_lshlrev_b32_e32 v4, 16, v20
	v_pk_add_f32 v[2:3], v[2:3], v[4:5] op_sel_hi:[0,1]
	v_and_b32_e32 v3, 0x7f800000, v2
	v_cmp_ne_u32_e32 vcc, s65, v3
                                        ; implicit-def: $vgpr23
	s_and_saveexec_b64 s[20:21], vcc
	s_xor_b64 s[20:21], exec, s[20:21]
; %bb.835:                              ;   in Loop: Header=BB8_611 Depth=1
	v_bfe_u32 v3, v2, 16, 1
	v_add3_u32 v23, v2, v3, s66
                                        ; implicit-def: $vgpr2_vgpr3
; %bb.836:                              ;   in Loop: Header=BB8_611 Depth=1
	s_andn2_saveexec_b64 s[20:21], s[20:21]
; %bb.837:                              ;   in Loop: Header=BB8_611 Depth=1
	v_or_b32_e32 v3, 0x10000, v2
	v_cmp_eq_u32_sdwa vcc, v2, v53 src0_sel:WORD_0 src1_sel:DWORD
	v_cndmask_b32_e32 v23, v3, v2, vcc
; %bb.838:                              ;   in Loop: Header=BB8_611 Depth=1
	s_or_b64 exec, exec, s[20:21]
	v_mov_b32_e32 v2, v20
	v_mov_b32_e32 v3, v24
	v_and_b32_e32 v4, 0xffff0000, v3
	v_and_b32_e32 v2, 0xffff0000, v2
	v_pk_add_f32 v[2:3], v[4:5], v[2:3] op_sel_hi:[0,1]
	v_and_b32_e32 v3, 0x7f800000, v2
	v_cmp_ne_u32_e32 vcc, s65, v3
                                        ; implicit-def: $vgpr20
	s_and_saveexec_b64 s[20:21], vcc
	s_xor_b64 s[20:21], exec, s[20:21]
; %bb.839:                              ;   in Loop: Header=BB8_611 Depth=1
	v_bfe_u32 v3, v2, 16, 1
	v_add3_u32 v20, v2, v3, s66
                                        ; implicit-def: $vgpr2_vgpr3
; %bb.840:                              ;   in Loop: Header=BB8_611 Depth=1
	s_andn2_saveexec_b64 s[20:21], s[20:21]
; %bb.841:                              ;   in Loop: Header=BB8_611 Depth=1
	v_or_b32_e32 v3, 0x10000, v2
	v_cmp_eq_u32_sdwa vcc, v2, v53 src0_sel:WORD_0 src1_sel:DWORD
	v_cndmask_b32_e32 v20, v3, v2, vcc
; %bb.842:                              ;   in Loop: Header=BB8_611 Depth=1
	s_or_b64 exec, exec, s[20:21]
	v_lshlrev_b32_e32 v2, 16, v25
	v_lshlrev_b32_e32 v4, 16, v21
	v_pk_add_f32 v[2:3], v[2:3], v[4:5] op_sel_hi:[0,1]
	v_and_b32_e32 v3, 0x7f800000, v2
	v_cmp_ne_u32_e32 vcc, s65, v3
                                        ; implicit-def: $vgpr4
	s_and_saveexec_b64 s[20:21], vcc
	s_xor_b64 s[20:21], exec, s[20:21]
; %bb.843:                              ;   in Loop: Header=BB8_611 Depth=1
	v_bfe_u32 v3, v2, 16, 1
	v_add3_u32 v4, v2, v3, s66
                                        ; implicit-def: $vgpr2_vgpr3
; %bb.844:                              ;   in Loop: Header=BB8_611 Depth=1
	s_andn2_saveexec_b64 s[20:21], s[20:21]
; %bb.845:                              ;   in Loop: Header=BB8_611 Depth=1
	v_or_b32_e32 v3, 0x10000, v2
	v_cmp_eq_u32_sdwa vcc, v2, v53 src0_sel:WORD_0 src1_sel:DWORD
	v_cndmask_b32_e32 v4, v3, v2, vcc
; %bb.846:                              ;   in Loop: Header=BB8_611 Depth=1
	s_or_b64 exec, exec, s[20:21]
	v_mov_b32_e32 v2, v21
	v_and_b32_e32 v6, 0xffff0000, v25
	v_and_b32_e32 v2, 0xffff0000, v2
	v_pk_add_f32 v[2:3], v[6:7], v[2:3] op_sel_hi:[0,1]
	v_and_b32_e32 v3, 0x7f800000, v2
	v_cmp_ne_u32_e32 vcc, s65, v3
                                        ; implicit-def: $vgpr21
	s_and_saveexec_b64 s[20:21], vcc
	s_xor_b64 s[20:21], exec, s[20:21]
; %bb.847:                              ;   in Loop: Header=BB8_611 Depth=1
	v_bfe_u32 v3, v2, 16, 1
	v_add3_u32 v21, v2, v3, s66
                                        ; implicit-def: $vgpr2_vgpr3
; %bb.848:                              ;   in Loop: Header=BB8_611 Depth=1
	s_andn2_saveexec_b64 s[20:21], s[20:21]
; %bb.849:                              ;   in Loop: Header=BB8_611 Depth=1
	v_or_b32_e32 v3, 0x10000, v2
	v_cmp_eq_u32_sdwa vcc, v2, v53 src0_sel:WORD_0 src1_sel:DWORD
	v_cndmask_b32_e32 v21, v3, v2, vcc
; %bb.850:                              ;   in Loop: Header=BB8_611 Depth=1
	s_or_b64 exec, exec, s[20:21]
	v_lshlrev_b32_e32 v2, 16, v14
	v_lshlrev_b32_e32 v6, 16, v10
	v_pk_add_f32 v[2:3], v[2:3], v[6:7] op_sel_hi:[0,1]
	v_and_b32_e32 v3, 0x7f800000, v2
	v_cmp_ne_u32_e32 vcc, s65, v3
                                        ; implicit-def: $vgpr24
	s_and_saveexec_b64 s[20:21], vcc
	s_xor_b64 s[20:21], exec, s[20:21]
; %bb.851:                              ;   in Loop: Header=BB8_611 Depth=1
	v_bfe_u32 v3, v2, 16, 1
	v_add3_u32 v24, v2, v3, s66
                                        ; implicit-def: $vgpr2_vgpr3
; %bb.852:                              ;   in Loop: Header=BB8_611 Depth=1
	s_andn2_saveexec_b64 s[20:21], s[20:21]
; %bb.853:                              ;   in Loop: Header=BB8_611 Depth=1
	v_or_b32_e32 v3, 0x10000, v2
	v_cmp_eq_u32_sdwa vcc, v2, v53 src0_sel:WORD_0 src1_sel:DWORD
	v_cndmask_b32_e32 v24, v3, v2, vcc
; %bb.854:                              ;   in Loop: Header=BB8_611 Depth=1
	s_or_b64 exec, exec, s[20:21]
	v_mov_b32_e32 v2, v10
	v_mov_b32_e32 v3, v14
	v_and_b32_e32 v6, 0xffff0000, v3
	v_and_b32_e32 v2, 0xffff0000, v2
	v_pk_add_f32 v[2:3], v[6:7], v[2:3] op_sel_hi:[0,1]
	v_and_b32_e32 v3, 0x7f800000, v2
	v_cmp_ne_u32_e32 vcc, s65, v3
                                        ; implicit-def: $vgpr10
	s_and_saveexec_b64 s[20:21], vcc
	s_xor_b64 s[20:21], exec, s[20:21]
; %bb.855:                              ;   in Loop: Header=BB8_611 Depth=1
	v_bfe_u32 v3, v2, 16, 1
	v_add3_u32 v10, v2, v3, s66
                                        ; implicit-def: $vgpr2_vgpr3
; %bb.856:                              ;   in Loop: Header=BB8_611 Depth=1
	s_andn2_saveexec_b64 s[20:21], s[20:21]
; %bb.857:                              ;   in Loop: Header=BB8_611 Depth=1
	v_or_b32_e32 v3, 0x10000, v2
	v_cmp_eq_u32_sdwa vcc, v2, v53 src0_sel:WORD_0 src1_sel:DWORD
	v_cndmask_b32_e32 v10, v3, v2, vcc
; %bb.858:                              ;   in Loop: Header=BB8_611 Depth=1
	s_or_b64 exec, exec, s[20:21]
	v_lshlrev_b32_e32 v2, 16, v15
	v_lshlrev_b32_e32 v6, 16, v11
	v_pk_add_f32 v[2:3], v[2:3], v[6:7] op_sel_hi:[0,1]
	v_and_b32_e32 v3, 0x7f800000, v2
	v_cmp_ne_u32_e32 vcc, s65, v3
                                        ; implicit-def: $vgpr5
	s_and_saveexec_b64 s[20:21], vcc
	s_xor_b64 s[20:21], exec, s[20:21]
; %bb.859:                              ;   in Loop: Header=BB8_611 Depth=1
	v_bfe_u32 v3, v2, 16, 1
	v_add3_u32 v5, v2, v3, s66
                                        ; implicit-def: $vgpr2_vgpr3
; %bb.860:                              ;   in Loop: Header=BB8_611 Depth=1
	s_andn2_saveexec_b64 s[20:21], s[20:21]
; %bb.861:                              ;   in Loop: Header=BB8_611 Depth=1
	v_or_b32_e32 v3, 0x10000, v2
	v_cmp_eq_u32_sdwa vcc, v2, v53 src0_sel:WORD_0 src1_sel:DWORD
	v_cndmask_b32_e32 v5, v3, v2, vcc
; %bb.862:                              ;   in Loop: Header=BB8_611 Depth=1
	s_or_b64 exec, exec, s[20:21]
	v_mov_b32_e32 v2, v11
	v_and_b32_e32 v6, 0xffff0000, v15
	v_and_b32_e32 v2, 0xffff0000, v2
	v_pk_add_f32 v[2:3], v[6:7], v[2:3] op_sel_hi:[0,1]
	v_and_b32_e32 v3, 0x7f800000, v2
	v_cmp_ne_u32_e32 vcc, s65, v3
                                        ; implicit-def: $vgpr11
	s_and_saveexec_b64 s[20:21], vcc
	s_xor_b64 s[20:21], exec, s[20:21]
; %bb.863:                              ;   in Loop: Header=BB8_611 Depth=1
	v_bfe_u32 v3, v2, 16, 1
	v_add3_u32 v11, v2, v3, s66
                                        ; implicit-def: $vgpr2_vgpr3
; %bb.864:                              ;   in Loop: Header=BB8_611 Depth=1
	s_andn2_saveexec_b64 s[20:21], s[20:21]
; %bb.865:                              ;   in Loop: Header=BB8_611 Depth=1
	v_or_b32_e32 v3, 0x10000, v2
	v_cmp_eq_u32_sdwa vcc, v2, v53 src0_sel:WORD_0 src1_sel:DWORD
	v_cndmask_b32_e32 v11, v3, v2, vcc
; %bb.866:                              ;   in Loop: Header=BB8_611 Depth=1
	s_or_b64 exec, exec, s[20:21]
	v_lshlrev_b32_e32 v2, 16, v16
	v_lshlrev_b32_e32 v6, 16, v12
	v_pk_add_f32 v[2:3], v[2:3], v[6:7] op_sel_hi:[0,1]
	v_and_b32_e32 v3, 0x7f800000, v2
	v_cmp_ne_u32_e32 vcc, s65, v3
                                        ; implicit-def: $vgpr14
	s_and_saveexec_b64 s[20:21], vcc
	s_xor_b64 s[20:21], exec, s[20:21]
; %bb.867:                              ;   in Loop: Header=BB8_611 Depth=1
	v_bfe_u32 v3, v2, 16, 1
	v_add3_u32 v14, v2, v3, s66
                                        ; implicit-def: $vgpr2_vgpr3
; %bb.868:                              ;   in Loop: Header=BB8_611 Depth=1
	s_andn2_saveexec_b64 s[20:21], s[20:21]
; %bb.869:                              ;   in Loop: Header=BB8_611 Depth=1
	v_or_b32_e32 v3, 0x10000, v2
	v_cmp_eq_u32_sdwa vcc, v2, v53 src0_sel:WORD_0 src1_sel:DWORD
	v_cndmask_b32_e32 v14, v3, v2, vcc
; %bb.870:                              ;   in Loop: Header=BB8_611 Depth=1
	s_or_b64 exec, exec, s[20:21]
	v_mov_b32_e32 v2, v12
	v_mov_b32_e32 v3, v16
	v_and_b32_e32 v6, 0xffff0000, v3
	v_and_b32_e32 v2, 0xffff0000, v2
	v_pk_add_f32 v[2:3], v[6:7], v[2:3] op_sel_hi:[0,1]
	v_and_b32_e32 v3, 0x7f800000, v2
	v_cmp_ne_u32_e32 vcc, s65, v3
                                        ; implicit-def: $vgpr12
	s_and_saveexec_b64 s[20:21], vcc
	s_xor_b64 s[20:21], exec, s[20:21]
; %bb.871:                              ;   in Loop: Header=BB8_611 Depth=1
	v_bfe_u32 v3, v2, 16, 1
	v_add3_u32 v12, v2, v3, s66
                                        ; implicit-def: $vgpr2_vgpr3
; %bb.872:                              ;   in Loop: Header=BB8_611 Depth=1
	s_andn2_saveexec_b64 s[20:21], s[20:21]
; %bb.873:                              ;   in Loop: Header=BB8_611 Depth=1
	v_or_b32_e32 v3, 0x10000, v2
	v_cmp_eq_u32_sdwa vcc, v2, v53 src0_sel:WORD_0 src1_sel:DWORD
	v_cndmask_b32_e32 v12, v3, v2, vcc
; %bb.874:                              ;   in Loop: Header=BB8_611 Depth=1
	s_or_b64 exec, exec, s[20:21]
	v_lshlrev_b32_e32 v2, 16, v17
	v_lshlrev_b32_e32 v6, 16, v13
	v_pk_add_f32 v[2:3], v[2:3], v[6:7] op_sel_hi:[0,1]
	v_and_b32_e32 v3, 0x7f800000, v2
	v_cmp_ne_u32_e32 vcc, s65, v3
                                        ; implicit-def: $vgpr6
	s_and_saveexec_b64 s[20:21], vcc
	s_xor_b64 s[20:21], exec, s[20:21]
; %bb.875:                              ;   in Loop: Header=BB8_611 Depth=1
	v_bfe_u32 v3, v2, 16, 1
	v_add3_u32 v6, v2, v3, s66
                                        ; implicit-def: $vgpr2_vgpr3
; %bb.876:                              ;   in Loop: Header=BB8_611 Depth=1
	s_andn2_saveexec_b64 s[20:21], s[20:21]
; %bb.877:                              ;   in Loop: Header=BB8_611 Depth=1
	v_or_b32_e32 v3, 0x10000, v2
	v_cmp_eq_u32_sdwa vcc, v2, v53 src0_sel:WORD_0 src1_sel:DWORD
	v_cndmask_b32_e32 v6, v3, v2, vcc
; %bb.878:                              ;   in Loop: Header=BB8_611 Depth=1
	s_or_b64 exec, exec, s[20:21]
	v_mov_b32_e32 v2, v13
	v_and_b32_e32 v8, 0xffff0000, v17
	v_and_b32_e32 v2, 0xffff0000, v2
	v_pk_add_f32 v[2:3], v[8:9], v[2:3] op_sel_hi:[0,1]
	v_and_b32_e32 v3, 0x7f800000, v2
	v_cmp_ne_u32_e32 vcc, s65, v3
                                        ; implicit-def: $vgpr7
	s_and_saveexec_b64 s[20:21], vcc
	s_xor_b64 s[20:21], exec, s[20:21]
; %bb.879:                              ;   in Loop: Header=BB8_611 Depth=1
	v_bfe_u32 v3, v2, 16, 1
	v_add3_u32 v7, v2, v3, s66
                                        ; implicit-def: $vgpr2_vgpr3
; %bb.880:                              ;   in Loop: Header=BB8_611 Depth=1
	s_andn2_saveexec_b64 s[20:21], s[20:21]
; %bb.881:                              ;   in Loop: Header=BB8_611 Depth=1
	v_or_b32_e32 v3, 0x10000, v2
	v_cmp_eq_u32_sdwa vcc, v2, v53 src0_sel:WORD_0 src1_sel:DWORD
	v_cndmask_b32_e32 v7, v3, v2, vcc
; %bb.882:                              ;   in Loop: Header=BB8_611 Depth=1
	s_or_b64 exec, exec, s[20:21]
	v_lshrrev_b32_e32 v2, 16, v22
	v_and_or_b32 v17, v19, s67, v2
	v_lshrrev_b32_e32 v2, 16, v26
	v_and_or_b32 v16, v18, s67, v2
	;; [unrolled: 2-line block ×5, first 2 shown]
	v_lshrrev_b32_e32 v2, 16, v24
	v_lshrrev_b32_e32 v4, 16, v14
	;; [unrolled: 1-line block ×3, first 2 shown]
	v_and_or_b32 v2, v10, s67, v2
	v_and_or_b32 v4, v12, s67, v4
	v_and_or_b32 v5, v7, s67, v5
	global_store_dwordx4 v[0:1], v[16:19], off glc slc
	global_store_dwordx4 v[0:1], v[2:5], off offset:1024 glc slc
.LBB8_883:                              ;   in Loop: Header=BB8_611 Depth=1
	s_or_b64 exec, exec, s[18:19]
	v_accvgpr_read_b32 v0, a49
	v_lshlrev_b32_e32 v14, 11, v0
	v_accvgpr_read_b32 v3, a48
	v_cmp_ne_u32_e32 vcc, v3, v14
	s_mov_b64 s[18:19], 0
	v_mov_b32_e32 v19, 0
                                        ; implicit-def: $vgpr20
                                        ; implicit-def: $vgpr0
	s_and_saveexec_b64 s[44:45], vcc
	s_cbranch_execz .LBB8_998
; %bb.884:                              ;   in Loop: Header=BB8_611 Depth=1
	v_lshlrev_b32_e32 v1, 6, v52
	v_sub_u32_e32 v1, v36, v1
	v_ashrrev_i32_e32 v2, 31, v1
	v_lshrrev_b32_e32 v2, 26, v2
	v_add_u32_e32 v2, v1, v2
	v_sub_u32_e32 v0, v3, v14
	v_ashrrev_i32_e32 v3, 6, v2
	v_and_b32_e32 v2, 0xffffffc0, v2
	v_sub_u32_e32 v15, v1, v2
	v_lshlrev_b32_e32 v1, 4, v15
	v_lshl_add_u32 v1, v3, 10, v1
	v_add_u32_e32 v10, v1, v14
	v_sub_u32_e32 v19, v0, v1
	v_ashrrev_i32_e32 v1, 31, v0
	v_lshrrev_b32_e32 v1, 22, v1
	v_add_u32_e32 v1, v0, v1
	v_and_b32_e32 v16, 0xfffffc00, v1
	v_sub_u32_e32 v17, v0, v16
	v_ashrrev_i32_e32 v2, 10, v1
	v_cmp_lt_i32_e64 s[18:19], 15, v17
	v_addc_co_u32_e64 v0, vcc, 0, v2, s[18:19]
	v_sub_u32_e32 v18, v0, v3
	v_accvgpr_read_b32 v0, a50
	v_ashrrev_i32_e32 v11, 31, v10
	v_accvgpr_read_b32 v1, a51
	v_add_co_u32_e32 v0, vcc, v10, v0
	v_addc_co_u32_e32 v1, vcc, v11, v1, vcc
	v_cmp_lt_i32_e32 vcc, 15, v19
	s_mov_b64 s[22:23], 0
	s_and_saveexec_b64 s[46:47], vcc
	s_cbranch_execz .LBB8_961
; %bb.885:                              ;   in Loop: Header=BB8_611 Depth=1
	s_trap 2
	ds_read_b128 v[2:5], v0
	s_mov_b64 s[52:53], 0
	s_mov_b64 s[48:49], 0
                                        ; implicit-def: $sgpr50_sgpr51
	s_waitcnt lgkmcnt(0)
	v_add_co_u32_e32 v2, vcc, v2, v10
	v_addc_co_u32_e32 v3, vcc, v3, v11, vcc
	v_add_co_u32_e32 v10, vcc, v4, v10
	v_addc_co_u32_e32 v11, vcc, v5, v11, vcc
	s_branch .LBB8_887
.LBB8_886:                              ;   in Loop: Header=BB8_887 Depth=2
	s_or_b64 exec, exec, s[20:21]
	v_cmp_gt_i32_e32 vcc, 16, v19
	s_or_b64 s[48:49], vcc, s[48:49]
	s_andn2_b64 s[20:21], s[50:51], exec
	s_and_b64 s[22:23], s[52:53], exec
	s_or_b64 s[50:51], s[20:21], s[22:23]
	s_andn2_b64 exec, exec, s[48:49]
	s_cbranch_execz .LBB8_960
.LBB8_887:                              ;   Parent Loop BB8_611 Depth=1
                                        ; =>  This Loop Header: Depth=2
                                        ;       Child Loop BB8_888 Depth 3
                                        ;       Child Loop BB8_925 Depth 3
	v_lshrrev_b32_e64 v4, 6, s33
	v_add_u32_e32 v4, 0xa0, v4
	s_mov_b64 s[54:55], -1
	s_mov_b64 s[56:57], 0
.LBB8_888:                              ;   Parent Loop BB8_611 Depth=1
                                        ;     Parent Loop BB8_887 Depth=2
                                        ; =>    This Inner Loop Header: Depth=3
	s_cmp_eq_u32 s56, 1
	s_cselect_b64 s[20:21], -1, 0
	v_cndmask_b32_e64 v13, v3, v11, s[20:21]
	v_cndmask_b32_e64 v12, v2, v10, s[20:21]
	global_load_dwordx4 v[6:9], v[12:13], off glc slc
	v_add_co_u32_e32 v5, vcc, s62, v12
	s_cmp_eq_u32 s56, 0
	v_addc_co_u32_e32 v12, vcc, 0, v13, vcc
	s_cselect_b64 vcc, -1, 0
	s_and_b64 s[22:23], exec, s[54:55]
	s_mov_b64 s[56:57], 1
	v_cndmask_b32_e64 v10, v10, v5, s[20:21]
	s_mov_b64 s[54:55], 0
	v_cndmask_b32_e32 v3, v3, v12, vcc
	v_cndmask_b32_e32 v2, v2, v5, vcc
	v_cndmask_b32_e64 v11, v11, v12, s[20:21]
	s_mov_b64 vcc, s[22:23]
	s_waitcnt vmcnt(0)
	buffer_store_dword v7, v4, s[0:3], 0 offen offset:4
	buffer_store_dword v6, v4, s[0:3], 0 offen
	buffer_store_dword v9, v4, s[0:3], 0 offen offset:12
	buffer_store_dword v8, v4, s[0:3], 0 offen offset:8
	v_mov_b32_e32 v4, v56
	s_cbranch_vccnz .LBB8_888
; %bb.889:                              ;   in Loop: Header=BB8_887 Depth=2
	s_and_saveexec_b64 s[20:21], s[52:53]
	s_cbranch_execz .LBB8_923
; %bb.890:                              ;   in Loop: Header=BB8_887 Depth=2
	buffer_load_dword v6, off, s[0:3], s33 offset:208
	buffer_load_dword v5, off, s[0:3], s33 offset:192
	;; [unrolled: 1-line block ×8, first 2 shown]
	s_waitcnt vmcnt(7)
	v_lshlrev_b32_e32 v4, 16, v6
	s_waitcnt vmcnt(6)
	v_lshlrev_b32_e32 v8, 16, v5
	v_pk_add_f32 v[12:13], v[4:5], v[8:9] op_sel_hi:[0,1]
	v_and_b32_e32 v4, 0x7f800000, v12
	v_cmp_ne_u32_e32 vcc, s65, v4
                                        ; implicit-def: $vgpr4
	s_and_saveexec_b64 s[22:23], vcc
	s_xor_b64 s[22:23], exec, s[22:23]
; %bb.891:                              ;   in Loop: Header=BB8_887 Depth=2
	v_bfe_u32 v4, v12, 16, 1
	v_add3_u32 v4, v12, v4, s66
                                        ; implicit-def: $vgpr12_vgpr13
; %bb.892:                              ;   in Loop: Header=BB8_887 Depth=2
	s_andn2_saveexec_b64 s[22:23], s[22:23]
; %bb.893:                              ;   in Loop: Header=BB8_887 Depth=2
	v_or_b32_e32 v4, 0x10000, v12
	v_cmp_eq_u32_sdwa vcc, v12, v53 src0_sel:WORD_0 src1_sel:DWORD
	v_cndmask_b32_e32 v4, v4, v12, vcc
; %bb.894:                              ;   in Loop: Header=BB8_887 Depth=2
	s_or_b64 exec, exec, s[22:23]
	v_and_b32_e32 v6, 0xffff0000, v6
	v_and_b32_e32 v8, 0xffff0000, v5
	v_pk_add_f32 v[12:13], v[6:7], v[8:9] op_sel_hi:[0,1]
	v_and_b32_e32 v5, 0x7f800000, v12
	v_cmp_ne_u32_e32 vcc, s65, v5
                                        ; implicit-def: $vgpr22
	s_and_saveexec_b64 s[22:23], vcc
	s_xor_b64 s[22:23], exec, s[22:23]
; %bb.895:                              ;   in Loop: Header=BB8_887 Depth=2
	v_bfe_u32 v5, v12, 16, 1
	v_add3_u32 v22, v12, v5, s66
                                        ; implicit-def: $vgpr12_vgpr13
; %bb.896:                              ;   in Loop: Header=BB8_887 Depth=2
	s_andn2_saveexec_b64 s[22:23], s[22:23]
; %bb.897:                              ;   in Loop: Header=BB8_887 Depth=2
	v_or_b32_e32 v5, 0x10000, v12
	v_cmp_eq_u32_sdwa vcc, v12, v53 src0_sel:WORD_0 src1_sel:DWORD
	v_cndmask_b32_e32 v22, v5, v12, vcc
; %bb.898:                              ;   in Loop: Header=BB8_887 Depth=2
	s_or_b64 exec, exec, s[22:23]
	s_waitcnt vmcnt(2)
	v_lshlrev_b32_e32 v6, 16, v26
	v_lshlrev_b32_e32 v8, 16, v25
	v_pk_add_f32 v[12:13], v[6:7], v[8:9] op_sel_hi:[0,1]
	v_and_b32_e32 v5, 0x7f800000, v12
	v_cmp_ne_u32_e32 vcc, s65, v5
                                        ; implicit-def: $vgpr5
	s_and_saveexec_b64 s[22:23], vcc
	s_xor_b64 s[22:23], exec, s[22:23]
; %bb.899:                              ;   in Loop: Header=BB8_887 Depth=2
	v_bfe_u32 v5, v12, 16, 1
	v_add3_u32 v5, v12, v5, s66
                                        ; implicit-def: $vgpr12_vgpr13
; %bb.900:                              ;   in Loop: Header=BB8_887 Depth=2
	s_andn2_saveexec_b64 s[22:23], s[22:23]
; %bb.901:                              ;   in Loop: Header=BB8_887 Depth=2
	v_or_b32_e32 v5, 0x10000, v12
	v_cmp_eq_u32_sdwa vcc, v12, v53 src0_sel:WORD_0 src1_sel:DWORD
	v_cndmask_b32_e32 v5, v5, v12, vcc
; %bb.902:                              ;   in Loop: Header=BB8_887 Depth=2
	s_or_b64 exec, exec, s[22:23]
	v_and_b32_e32 v6, 0xffff0000, v26
	v_and_b32_e32 v8, 0xffff0000, v25
	v_pk_add_f32 v[12:13], v[6:7], v[8:9] op_sel_hi:[0,1]
	v_and_b32_e32 v6, 0x7f800000, v12
	v_cmp_ne_u32_e32 vcc, s65, v6
                                        ; implicit-def: $vgpr25
	s_and_saveexec_b64 s[22:23], vcc
	s_xor_b64 s[22:23], exec, s[22:23]
; %bb.903:                              ;   in Loop: Header=BB8_887 Depth=2
	v_bfe_u32 v6, v12, 16, 1
	v_add3_u32 v25, v12, v6, s66
                                        ; implicit-def: $vgpr12_vgpr13
; %bb.904:                              ;   in Loop: Header=BB8_887 Depth=2
	s_andn2_saveexec_b64 s[22:23], s[22:23]
; %bb.905:                              ;   in Loop: Header=BB8_887 Depth=2
	v_or_b32_e32 v6, 0x10000, v12
	v_cmp_eq_u32_sdwa vcc, v12, v53 src0_sel:WORD_0 src1_sel:DWORD
	v_cndmask_b32_e32 v25, v6, v12, vcc
; %bb.906:                              ;   in Loop: Header=BB8_887 Depth=2
	s_or_b64 exec, exec, s[22:23]
	s_waitcnt vmcnt(1)
	v_lshlrev_b32_e32 v6, 16, v24
	v_lshlrev_b32_e32 v8, 16, v23
	v_pk_add_f32 v[12:13], v[6:7], v[8:9] op_sel_hi:[0,1]
	v_and_b32_e32 v6, 0x7f800000, v12
	v_cmp_ne_u32_e32 vcc, s65, v6
                                        ; implicit-def: $vgpr26
	s_and_saveexec_b64 s[22:23], vcc
	s_xor_b64 s[22:23], exec, s[22:23]
; %bb.907:                              ;   in Loop: Header=BB8_887 Depth=2
	v_bfe_u32 v6, v12, 16, 1
	v_add3_u32 v26, v12, v6, s66
                                        ; implicit-def: $vgpr12_vgpr13
; %bb.908:                              ;   in Loop: Header=BB8_887 Depth=2
	s_andn2_saveexec_b64 s[22:23], s[22:23]
; %bb.909:                              ;   in Loop: Header=BB8_887 Depth=2
	v_or_b32_e32 v6, 0x10000, v12
	v_cmp_eq_u32_sdwa vcc, v12, v53 src0_sel:WORD_0 src1_sel:DWORD
	v_cndmask_b32_e32 v26, v6, v12, vcc
; %bb.910:                              ;   in Loop: Header=BB8_887 Depth=2
	s_or_b64 exec, exec, s[22:23]
	v_and_b32_e32 v6, 0xffff0000, v24
	v_and_b32_e32 v8, 0xffff0000, v23
	v_pk_add_f32 v[12:13], v[6:7], v[8:9] op_sel_hi:[0,1]
	v_and_b32_e32 v6, 0x7f800000, v12
	v_cmp_ne_u32_e32 vcc, s65, v6
                                        ; implicit-def: $vgpr23
	s_and_saveexec_b64 s[22:23], vcc
	s_xor_b64 s[22:23], exec, s[22:23]
; %bb.911:                              ;   in Loop: Header=BB8_887 Depth=2
	v_bfe_u32 v6, v12, 16, 1
	v_add3_u32 v23, v12, v6, s66
                                        ; implicit-def: $vgpr12_vgpr13
; %bb.912:                              ;   in Loop: Header=BB8_887 Depth=2
	s_andn2_saveexec_b64 s[22:23], s[22:23]
; %bb.913:                              ;   in Loop: Header=BB8_887 Depth=2
	v_or_b32_e32 v6, 0x10000, v12
	v_cmp_eq_u32_sdwa vcc, v12, v53 src0_sel:WORD_0 src1_sel:DWORD
	v_cndmask_b32_e32 v23, v6, v12, vcc
; %bb.914:                              ;   in Loop: Header=BB8_887 Depth=2
	s_or_b64 exec, exec, s[22:23]
	s_waitcnt vmcnt(0)
	v_lshlrev_b32_e32 v6, 16, v21
	v_lshlrev_b32_e32 v8, 16, v20
	v_pk_add_f32 v[12:13], v[6:7], v[8:9] op_sel_hi:[0,1]
	v_and_b32_e32 v6, 0x7f800000, v12
	v_cmp_ne_u32_e32 vcc, s65, v6
                                        ; implicit-def: $vgpr6
	s_and_saveexec_b64 s[22:23], vcc
	s_xor_b64 s[22:23], exec, s[22:23]
; %bb.915:                              ;   in Loop: Header=BB8_887 Depth=2
	v_bfe_u32 v6, v12, 16, 1
	v_add3_u32 v6, v12, v6, s66
                                        ; implicit-def: $vgpr12_vgpr13
; %bb.916:                              ;   in Loop: Header=BB8_887 Depth=2
	s_andn2_saveexec_b64 s[22:23], s[22:23]
; %bb.917:                              ;   in Loop: Header=BB8_887 Depth=2
	v_or_b32_e32 v6, 0x10000, v12
	v_cmp_eq_u32_sdwa vcc, v12, v53 src0_sel:WORD_0 src1_sel:DWORD
	v_cndmask_b32_e32 v6, v6, v12, vcc
; %bb.918:                              ;   in Loop: Header=BB8_887 Depth=2
	s_or_b64 exec, exec, s[22:23]
	v_and_b32_e32 v8, 0xffff0000, v21
	v_and_b32_e32 v12, 0xffff0000, v20
	v_pk_add_f32 v[12:13], v[8:9], v[12:13] op_sel_hi:[0,1]
	v_and_b32_e32 v7, 0x7f800000, v12
	v_cmp_ne_u32_e32 vcc, s65, v7
                                        ; implicit-def: $vgpr7
	s_and_saveexec_b64 s[22:23], vcc
	s_xor_b64 s[22:23], exec, s[22:23]
; %bb.919:                              ;   in Loop: Header=BB8_887 Depth=2
	v_bfe_u32 v7, v12, 16, 1
	v_add3_u32 v7, v12, v7, s66
                                        ; implicit-def: $vgpr12_vgpr13
; %bb.920:                              ;   in Loop: Header=BB8_887 Depth=2
	s_andn2_saveexec_b64 s[22:23], s[22:23]
; %bb.921:                              ;   in Loop: Header=BB8_887 Depth=2
	v_or_b32_e32 v7, 0x10000, v12
	v_cmp_eq_u32_sdwa vcc, v12, v53 src0_sel:WORD_0 src1_sel:DWORD
	v_cndmask_b32_e32 v7, v7, v12, vcc
; %bb.922:                              ;   in Loop: Header=BB8_887 Depth=2
	s_or_b64 exec, exec, s[22:23]
	v_lshrrev_b32_e32 v4, 16, v4
	v_and_or_b32 v20, v22, s67, v4
	v_lshrrev_b32_e32 v4, 16, v26
	v_lshrrev_b32_e32 v5, 16, v5
	v_and_or_b32 v22, v23, s67, v4
	v_lshrrev_b32_e32 v4, 16, v6
	v_and_or_b32 v21, v25, s67, v5
	v_and_or_b32 v23, v7, s67, v4
	buffer_store_dword v21, off, s[0:3], s33 offset:196
	buffer_store_dword v20, off, s[0:3], s33 offset:192
	;; [unrolled: 1-line block ×4, first 2 shown]
	global_store_dwordx4 v[0:1], v[20:23], off glc slc
	v_add_co_u32_e32 v0, vcc, v51, v0
	v_addc_co_u32_e32 v1, vcc, v54, v1, vcc
.LBB8_923:                              ;   in Loop: Header=BB8_887 Depth=2
	s_or_b64 exec, exec, s[20:21]
	v_add_co_u32_e32 v2, vcc, v2, v50
	v_addc_co_u32_e32 v3, vcc, v3, v49, vcc
	v_add_co_u32_e32 v10, vcc, v10, v50
	v_sub_u32_e32 v19, v19, v48
	v_addc_co_u32_e32 v11, vcc, v11, v49, vcc
	v_cmp_lt_i32_e64 s[52:53], 15, v19
	s_and_saveexec_b64 s[54:55], s[52:53]
	s_cbranch_execz .LBB8_926
; %bb.924:                              ;   in Loop: Header=BB8_887 Depth=2
	v_lshrrev_b32_e64 v4, 6, s33
	v_add_u32_e32 v4, 0xc0, v4
	s_mov_b64 s[58:59], 0
	s_mov_b64 s[56:57], -1
.LBB8_925:                              ;   Parent Loop BB8_611 Depth=1
                                        ;     Parent Loop BB8_887 Depth=2
                                        ; =>    This Inner Loop Header: Depth=3
	s_cmp_eq_u32 s58, 1
	s_cselect_b64 s[20:21], -1, 0
	v_cndmask_b32_e64 v13, v3, v11, s[20:21]
	v_cndmask_b32_e64 v12, v2, v10, s[20:21]
	global_load_dwordx4 v[6:9], v[12:13], off glc slc
	v_add_co_u32_e32 v5, vcc, s62, v12
	s_cmp_eq_u32 s58, 0
	v_addc_co_u32_e32 v12, vcc, 0, v13, vcc
	s_cselect_b64 vcc, -1, 0
	s_and_b64 s[22:23], exec, s[56:57]
	s_mov_b64 s[58:59], 1
	v_cndmask_b32_e64 v10, v10, v5, s[20:21]
	s_mov_b64 s[56:57], 0
	v_cndmask_b32_e32 v3, v3, v12, vcc
	v_cndmask_b32_e32 v2, v2, v5, vcc
	v_cndmask_b32_e64 v11, v11, v12, s[20:21]
	s_mov_b64 vcc, s[22:23]
	s_waitcnt vmcnt(0)
	buffer_store_dword v7, v4, s[0:3], 0 offen offset:4
	buffer_store_dword v6, v4, s[0:3], 0 offen
	buffer_store_dword v9, v4, s[0:3], 0 offen offset:12
	buffer_store_dword v8, v4, s[0:3], 0 offen offset:8
	v_mov_b32_e32 v4, v39
	s_cbranch_vccnz .LBB8_925
.LBB8_926:                              ;   in Loop: Header=BB8_887 Depth=2
	s_or_b64 exec, exec, s[54:55]
	buffer_load_dword v6, off, s[0:3], s33 offset:176
	buffer_load_dword v5, off, s[0:3], s33 offset:160
	;; [unrolled: 1-line block ×8, first 2 shown]
	s_waitcnt vmcnt(7)
	v_lshlrev_b32_e32 v4, 16, v6
	s_waitcnt vmcnt(6)
	v_lshlrev_b32_e32 v8, 16, v5
	v_pk_add_f32 v[12:13], v[4:5], v[8:9] op_sel_hi:[0,1]
	v_and_b32_e32 v4, 0x7f800000, v12
	v_cmp_ne_u32_e32 vcc, s65, v4
                                        ; implicit-def: $vgpr4
	s_and_saveexec_b64 s[20:21], vcc
	s_xor_b64 s[20:21], exec, s[20:21]
; %bb.927:                              ;   in Loop: Header=BB8_887 Depth=2
	v_bfe_u32 v4, v12, 16, 1
	v_add3_u32 v4, v12, v4, s66
                                        ; implicit-def: $vgpr12_vgpr13
; %bb.928:                              ;   in Loop: Header=BB8_887 Depth=2
	s_andn2_saveexec_b64 s[20:21], s[20:21]
; %bb.929:                              ;   in Loop: Header=BB8_887 Depth=2
	v_or_b32_e32 v4, 0x10000, v12
	v_cmp_eq_u32_sdwa vcc, v12, v53 src0_sel:WORD_0 src1_sel:DWORD
	v_cndmask_b32_e32 v4, v4, v12, vcc
; %bb.930:                              ;   in Loop: Header=BB8_887 Depth=2
	s_or_b64 exec, exec, s[20:21]
	v_and_b32_e32 v6, 0xffff0000, v6
	v_and_b32_e32 v8, 0xffff0000, v5
	v_pk_add_f32 v[12:13], v[6:7], v[8:9] op_sel_hi:[0,1]
	v_and_b32_e32 v5, 0x7f800000, v12
	v_cmp_ne_u32_e32 vcc, s65, v5
                                        ; implicit-def: $vgpr22
	s_and_saveexec_b64 s[20:21], vcc
	s_xor_b64 s[20:21], exec, s[20:21]
; %bb.931:                              ;   in Loop: Header=BB8_887 Depth=2
	v_bfe_u32 v5, v12, 16, 1
	v_add3_u32 v22, v12, v5, s66
                                        ; implicit-def: $vgpr12_vgpr13
; %bb.932:                              ;   in Loop: Header=BB8_887 Depth=2
	s_andn2_saveexec_b64 s[20:21], s[20:21]
; %bb.933:                              ;   in Loop: Header=BB8_887 Depth=2
	v_or_b32_e32 v5, 0x10000, v12
	v_cmp_eq_u32_sdwa vcc, v12, v53 src0_sel:WORD_0 src1_sel:DWORD
	v_cndmask_b32_e32 v22, v5, v12, vcc
; %bb.934:                              ;   in Loop: Header=BB8_887 Depth=2
	s_or_b64 exec, exec, s[20:21]
	s_waitcnt vmcnt(2)
	v_lshlrev_b32_e32 v6, 16, v26
	v_lshlrev_b32_e32 v8, 16, v25
	v_pk_add_f32 v[12:13], v[6:7], v[8:9] op_sel_hi:[0,1]
	v_and_b32_e32 v5, 0x7f800000, v12
	v_cmp_ne_u32_e32 vcc, s65, v5
                                        ; implicit-def: $vgpr5
	s_and_saveexec_b64 s[20:21], vcc
	s_xor_b64 s[20:21], exec, s[20:21]
; %bb.935:                              ;   in Loop: Header=BB8_887 Depth=2
	v_bfe_u32 v5, v12, 16, 1
	v_add3_u32 v5, v12, v5, s66
                                        ; implicit-def: $vgpr12_vgpr13
; %bb.936:                              ;   in Loop: Header=BB8_887 Depth=2
	s_andn2_saveexec_b64 s[20:21], s[20:21]
; %bb.937:                              ;   in Loop: Header=BB8_887 Depth=2
	v_or_b32_e32 v5, 0x10000, v12
	v_cmp_eq_u32_sdwa vcc, v12, v53 src0_sel:WORD_0 src1_sel:DWORD
	v_cndmask_b32_e32 v5, v5, v12, vcc
; %bb.938:                              ;   in Loop: Header=BB8_887 Depth=2
	s_or_b64 exec, exec, s[20:21]
	v_and_b32_e32 v6, 0xffff0000, v26
	v_and_b32_e32 v8, 0xffff0000, v25
	v_pk_add_f32 v[12:13], v[6:7], v[8:9] op_sel_hi:[0,1]
	v_and_b32_e32 v6, 0x7f800000, v12
	v_cmp_ne_u32_e32 vcc, s65, v6
                                        ; implicit-def: $vgpr25
	s_and_saveexec_b64 s[20:21], vcc
	s_xor_b64 s[20:21], exec, s[20:21]
; %bb.939:                              ;   in Loop: Header=BB8_887 Depth=2
	v_bfe_u32 v6, v12, 16, 1
	v_add3_u32 v25, v12, v6, s66
                                        ; implicit-def: $vgpr12_vgpr13
; %bb.940:                              ;   in Loop: Header=BB8_887 Depth=2
	s_andn2_saveexec_b64 s[20:21], s[20:21]
; %bb.941:                              ;   in Loop: Header=BB8_887 Depth=2
	v_or_b32_e32 v6, 0x10000, v12
	v_cmp_eq_u32_sdwa vcc, v12, v53 src0_sel:WORD_0 src1_sel:DWORD
	v_cndmask_b32_e32 v25, v6, v12, vcc
; %bb.942:                              ;   in Loop: Header=BB8_887 Depth=2
	s_or_b64 exec, exec, s[20:21]
	s_waitcnt vmcnt(1)
	v_lshlrev_b32_e32 v6, 16, v24
	v_lshlrev_b32_e32 v8, 16, v23
	v_pk_add_f32 v[12:13], v[6:7], v[8:9] op_sel_hi:[0,1]
	v_and_b32_e32 v6, 0x7f800000, v12
	v_cmp_ne_u32_e32 vcc, s65, v6
                                        ; implicit-def: $vgpr26
	s_and_saveexec_b64 s[20:21], vcc
	s_xor_b64 s[20:21], exec, s[20:21]
; %bb.943:                              ;   in Loop: Header=BB8_887 Depth=2
	v_bfe_u32 v6, v12, 16, 1
	v_add3_u32 v26, v12, v6, s66
                                        ; implicit-def: $vgpr12_vgpr13
; %bb.944:                              ;   in Loop: Header=BB8_887 Depth=2
	s_andn2_saveexec_b64 s[20:21], s[20:21]
; %bb.945:                              ;   in Loop: Header=BB8_887 Depth=2
	v_or_b32_e32 v6, 0x10000, v12
	v_cmp_eq_u32_sdwa vcc, v12, v53 src0_sel:WORD_0 src1_sel:DWORD
	v_cndmask_b32_e32 v26, v6, v12, vcc
; %bb.946:                              ;   in Loop: Header=BB8_887 Depth=2
	s_or_b64 exec, exec, s[20:21]
	v_and_b32_e32 v6, 0xffff0000, v24
	v_and_b32_e32 v8, 0xffff0000, v23
	v_pk_add_f32 v[12:13], v[6:7], v[8:9] op_sel_hi:[0,1]
	v_and_b32_e32 v6, 0x7f800000, v12
	v_cmp_ne_u32_e32 vcc, s65, v6
                                        ; implicit-def: $vgpr23
	s_and_saveexec_b64 s[20:21], vcc
	s_xor_b64 s[20:21], exec, s[20:21]
; %bb.947:                              ;   in Loop: Header=BB8_887 Depth=2
	v_bfe_u32 v6, v12, 16, 1
	v_add3_u32 v23, v12, v6, s66
                                        ; implicit-def: $vgpr12_vgpr13
; %bb.948:                              ;   in Loop: Header=BB8_887 Depth=2
	s_andn2_saveexec_b64 s[20:21], s[20:21]
; %bb.949:                              ;   in Loop: Header=BB8_887 Depth=2
	v_or_b32_e32 v6, 0x10000, v12
	v_cmp_eq_u32_sdwa vcc, v12, v53 src0_sel:WORD_0 src1_sel:DWORD
	v_cndmask_b32_e32 v23, v6, v12, vcc
; %bb.950:                              ;   in Loop: Header=BB8_887 Depth=2
	s_or_b64 exec, exec, s[20:21]
	s_waitcnt vmcnt(0)
	v_lshlrev_b32_e32 v6, 16, v21
	v_lshlrev_b32_e32 v8, 16, v20
	v_pk_add_f32 v[12:13], v[6:7], v[8:9] op_sel_hi:[0,1]
	v_and_b32_e32 v6, 0x7f800000, v12
	v_cmp_ne_u32_e32 vcc, s65, v6
                                        ; implicit-def: $vgpr6
	s_and_saveexec_b64 s[20:21], vcc
	s_xor_b64 s[20:21], exec, s[20:21]
; %bb.951:                              ;   in Loop: Header=BB8_887 Depth=2
	v_bfe_u32 v6, v12, 16, 1
	v_add3_u32 v6, v12, v6, s66
                                        ; implicit-def: $vgpr12_vgpr13
; %bb.952:                              ;   in Loop: Header=BB8_887 Depth=2
	s_andn2_saveexec_b64 s[20:21], s[20:21]
; %bb.953:                              ;   in Loop: Header=BB8_887 Depth=2
	v_or_b32_e32 v6, 0x10000, v12
	v_cmp_eq_u32_sdwa vcc, v12, v53 src0_sel:WORD_0 src1_sel:DWORD
	v_cndmask_b32_e32 v6, v6, v12, vcc
; %bb.954:                              ;   in Loop: Header=BB8_887 Depth=2
	s_or_b64 exec, exec, s[20:21]
	v_and_b32_e32 v8, 0xffff0000, v21
	v_and_b32_e32 v12, 0xffff0000, v20
	v_pk_add_f32 v[12:13], v[8:9], v[12:13] op_sel_hi:[0,1]
	v_and_b32_e32 v7, 0x7f800000, v12
	v_cmp_ne_u32_e32 vcc, s65, v7
                                        ; implicit-def: $vgpr7
	s_and_saveexec_b64 s[20:21], vcc
	s_xor_b64 s[20:21], exec, s[20:21]
; %bb.955:                              ;   in Loop: Header=BB8_887 Depth=2
	v_bfe_u32 v7, v12, 16, 1
	v_add3_u32 v7, v12, v7, s66
                                        ; implicit-def: $vgpr12_vgpr13
; %bb.956:                              ;   in Loop: Header=BB8_887 Depth=2
	s_andn2_saveexec_b64 s[20:21], s[20:21]
; %bb.957:                              ;   in Loop: Header=BB8_887 Depth=2
	v_or_b32_e32 v7, 0x10000, v12
	v_cmp_eq_u32_sdwa vcc, v12, v53 src0_sel:WORD_0 src1_sel:DWORD
	v_cndmask_b32_e32 v7, v7, v12, vcc
; %bb.958:                              ;   in Loop: Header=BB8_887 Depth=2
	s_or_b64 exec, exec, s[20:21]
	v_lshrrev_b32_e32 v4, 16, v4
	v_and_or_b32 v20, v22, s67, v4
	v_lshrrev_b32_e32 v4, 16, v26
	v_lshrrev_b32_e32 v5, 16, v5
	v_and_or_b32 v22, v23, s67, v4
	v_lshrrev_b32_e32 v4, 16, v6
	v_and_or_b32 v21, v25, s67, v5
	v_and_or_b32 v23, v7, s67, v4
	buffer_store_dword v21, off, s[0:3], s33 offset:164
	buffer_store_dword v20, off, s[0:3], s33 offset:160
	;; [unrolled: 1-line block ×4, first 2 shown]
	global_store_dwordx4 v[0:1], v[20:23], off glc slc
	v_add_co_u32_e32 v0, vcc, 0x400, v0
	v_sub_u32_e32 v18, v18, v30
	v_addc_co_u32_e32 v1, vcc, 0, v1, vcc
	s_and_saveexec_b64 s[20:21], s[52:53]
	s_cbranch_execz .LBB8_886
; %bb.959:                              ;   in Loop: Header=BB8_887 Depth=2
	v_add_co_u32_e32 v2, vcc, v2, v50
	v_addc_co_u32_e32 v3, vcc, v3, v49, vcc
	v_add_co_u32_e32 v10, vcc, v10, v50
	v_addc_co_u32_e32 v11, vcc, v11, v49, vcc
	v_add_co_u32_e32 v0, vcc, v0, v50
	v_addc_co_u32_e32 v1, vcc, v1, v49, vcc
	v_sub_u32_e32 v19, v19, v48
	v_sub_u32_e32 v18, v18, v30
	s_branch .LBB8_886
.LBB8_960:                              ;   in Loop: Header=BB8_611 Depth=1
	s_or_b64 exec, exec, s[48:49]
	s_and_b64 s[22:23], s[50:51], exec
.LBB8_961:                              ;   in Loop: Header=BB8_611 Depth=1
	s_or_b64 exec, exec, s[46:47]
	s_and_saveexec_b64 s[20:21], s[22:23]
	s_cbranch_execz .LBB8_995
; %bb.962:                              ;   in Loop: Header=BB8_611 Depth=1
	buffer_load_dword v6, off, s[0:3], s33 offset:208
	buffer_load_dword v5, off, s[0:3], s33 offset:192
	;; [unrolled: 1-line block ×8, first 2 shown]
	s_waitcnt vmcnt(0)
	v_lshlrev_b32_e32 v2, 16, v6
	s_waitcnt vmcnt(6)
	v_lshlrev_b32_e32 v4, 16, v5
	v_pk_add_f32 v[2:3], v[2:3], v[4:5] op_sel_hi:[0,1]
	v_and_b32_e32 v3, 0x7f800000, v2
	v_cmp_ne_u32_e32 vcc, s65, v3
                                        ; implicit-def: $vgpr4
	s_and_saveexec_b64 s[22:23], vcc
	s_xor_b64 s[22:23], exec, s[22:23]
; %bb.963:                              ;   in Loop: Header=BB8_611 Depth=1
	v_bfe_u32 v3, v2, 16, 1
	v_add3_u32 v4, v2, v3, s66
                                        ; implicit-def: $vgpr2_vgpr3
; %bb.964:                              ;   in Loop: Header=BB8_611 Depth=1
	s_andn2_saveexec_b64 s[22:23], s[22:23]
; %bb.965:                              ;   in Loop: Header=BB8_611 Depth=1
	v_or_b32_e32 v3, 0x10000, v2
	v_cmp_eq_u32_sdwa vcc, v2, v53 src0_sel:WORD_0 src1_sel:DWORD
	v_cndmask_b32_e32 v4, v3, v2, vcc
; %bb.966:                              ;   in Loop: Header=BB8_611 Depth=1
	s_or_b64 exec, exec, s[22:23]
	v_and_b32_e32 v2, 0xffff0000, v6
	v_and_b32_e32 v6, 0xffff0000, v5
	v_pk_add_f32 v[2:3], v[2:3], v[6:7] op_sel_hi:[0,1]
	v_and_b32_e32 v3, 0x7f800000, v2
	v_cmp_ne_u32_e32 vcc, s65, v3
                                        ; implicit-def: $vgpr12
	s_and_saveexec_b64 s[22:23], vcc
	s_xor_b64 s[22:23], exec, s[22:23]
; %bb.967:                              ;   in Loop: Header=BB8_611 Depth=1
	v_bfe_u32 v3, v2, 16, 1
	v_add3_u32 v12, v2, v3, s66
                                        ; implicit-def: $vgpr2_vgpr3
; %bb.968:                              ;   in Loop: Header=BB8_611 Depth=1
	s_andn2_saveexec_b64 s[22:23], s[22:23]
; %bb.969:                              ;   in Loop: Header=BB8_611 Depth=1
	v_or_b32_e32 v3, 0x10000, v2
	v_cmp_eq_u32_sdwa vcc, v2, v53 src0_sel:WORD_0 src1_sel:DWORD
	v_cndmask_b32_e32 v12, v3, v2, vcc
; %bb.970:                              ;   in Loop: Header=BB8_611 Depth=1
	s_or_b64 exec, exec, s[22:23]
	s_waitcnt vmcnt(2)
	v_lshlrev_b32_e32 v2, 16, v21
	v_lshlrev_b32_e32 v6, 16, v20
	v_pk_add_f32 v[2:3], v[2:3], v[6:7] op_sel_hi:[0,1]
	v_and_b32_e32 v3, 0x7f800000, v2
	v_cmp_ne_u32_e32 vcc, s65, v3
                                        ; implicit-def: $vgpr5
	s_and_saveexec_b64 s[22:23], vcc
	s_xor_b64 s[22:23], exec, s[22:23]
; %bb.971:                              ;   in Loop: Header=BB8_611 Depth=1
	v_bfe_u32 v3, v2, 16, 1
	v_add3_u32 v5, v2, v3, s66
                                        ; implicit-def: $vgpr2_vgpr3
; %bb.972:                              ;   in Loop: Header=BB8_611 Depth=1
	s_andn2_saveexec_b64 s[22:23], s[22:23]
; %bb.973:                              ;   in Loop: Header=BB8_611 Depth=1
	v_or_b32_e32 v3, 0x10000, v2
	v_cmp_eq_u32_sdwa vcc, v2, v53 src0_sel:WORD_0 src1_sel:DWORD
	v_cndmask_b32_e32 v5, v3, v2, vcc
; %bb.974:                              ;   in Loop: Header=BB8_611 Depth=1
	s_or_b64 exec, exec, s[22:23]
	v_and_b32_e32 v2, 0xffff0000, v21
	v_and_b32_e32 v6, 0xffff0000, v20
	v_pk_add_f32 v[2:3], v[2:3], v[6:7] op_sel_hi:[0,1]
	v_and_b32_e32 v3, 0x7f800000, v2
	v_cmp_ne_u32_e32 vcc, s65, v3
                                        ; implicit-def: $vgpr20
	s_and_saveexec_b64 s[22:23], vcc
	s_xor_b64 s[22:23], exec, s[22:23]
; %bb.975:                              ;   in Loop: Header=BB8_611 Depth=1
	v_bfe_u32 v3, v2, 16, 1
	v_add3_u32 v20, v2, v3, s66
                                        ; implicit-def: $vgpr2_vgpr3
; %bb.976:                              ;   in Loop: Header=BB8_611 Depth=1
	s_andn2_saveexec_b64 s[22:23], s[22:23]
; %bb.977:                              ;   in Loop: Header=BB8_611 Depth=1
	v_or_b32_e32 v3, 0x10000, v2
	v_cmp_eq_u32_sdwa vcc, v2, v53 src0_sel:WORD_0 src1_sel:DWORD
	v_cndmask_b32_e32 v20, v3, v2, vcc
; %bb.978:                              ;   in Loop: Header=BB8_611 Depth=1
	s_or_b64 exec, exec, s[22:23]
	s_waitcnt vmcnt(1)
	v_lshlrev_b32_e32 v2, 16, v19
	v_lshlrev_b32_e32 v6, 16, v13
	v_pk_add_f32 v[2:3], v[2:3], v[6:7] op_sel_hi:[0,1]
	v_and_b32_e32 v3, 0x7f800000, v2
	v_cmp_ne_u32_e32 vcc, s65, v3
                                        ; implicit-def: $vgpr21
	s_and_saveexec_b64 s[22:23], vcc
	s_xor_b64 s[22:23], exec, s[22:23]
; %bb.979:                              ;   in Loop: Header=BB8_611 Depth=1
	v_bfe_u32 v3, v2, 16, 1
	v_add3_u32 v21, v2, v3, s66
                                        ; implicit-def: $vgpr2_vgpr3
; %bb.980:                              ;   in Loop: Header=BB8_611 Depth=1
	s_andn2_saveexec_b64 s[22:23], s[22:23]
; %bb.981:                              ;   in Loop: Header=BB8_611 Depth=1
	v_or_b32_e32 v3, 0x10000, v2
	v_cmp_eq_u32_sdwa vcc, v2, v53 src0_sel:WORD_0 src1_sel:DWORD
	v_cndmask_b32_e32 v21, v3, v2, vcc
; %bb.982:                              ;   in Loop: Header=BB8_611 Depth=1
	s_or_b64 exec, exec, s[22:23]
	v_and_b32_e32 v2, 0xffff0000, v19
	v_and_b32_e32 v6, 0xffff0000, v13
	v_pk_add_f32 v[2:3], v[2:3], v[6:7] op_sel_hi:[0,1]
	v_and_b32_e32 v3, 0x7f800000, v2
	v_cmp_ne_u32_e32 vcc, s65, v3
                                        ; implicit-def: $vgpr13
	s_and_saveexec_b64 s[22:23], vcc
	s_xor_b64 s[22:23], exec, s[22:23]
; %bb.983:                              ;   in Loop: Header=BB8_611 Depth=1
	v_bfe_u32 v3, v2, 16, 1
	v_add3_u32 v13, v2, v3, s66
                                        ; implicit-def: $vgpr2_vgpr3
; %bb.984:                              ;   in Loop: Header=BB8_611 Depth=1
	s_andn2_saveexec_b64 s[22:23], s[22:23]
; %bb.985:                              ;   in Loop: Header=BB8_611 Depth=1
	v_or_b32_e32 v3, 0x10000, v2
	v_cmp_eq_u32_sdwa vcc, v2, v53 src0_sel:WORD_0 src1_sel:DWORD
	v_cndmask_b32_e32 v13, v3, v2, vcc
; %bb.986:                              ;   in Loop: Header=BB8_611 Depth=1
	s_or_b64 exec, exec, s[22:23]
	s_waitcnt vmcnt(0)
	v_lshlrev_b32_e32 v2, 16, v11
	v_lshlrev_b32_e32 v6, 16, v10
	v_pk_add_f32 v[2:3], v[2:3], v[6:7] op_sel_hi:[0,1]
	v_and_b32_e32 v3, 0x7f800000, v2
	v_cmp_ne_u32_e32 vcc, s65, v3
                                        ; implicit-def: $vgpr6
	s_and_saveexec_b64 s[22:23], vcc
	s_xor_b64 s[22:23], exec, s[22:23]
; %bb.987:                              ;   in Loop: Header=BB8_611 Depth=1
	v_bfe_u32 v3, v2, 16, 1
	v_add3_u32 v6, v2, v3, s66
                                        ; implicit-def: $vgpr2_vgpr3
; %bb.988:                              ;   in Loop: Header=BB8_611 Depth=1
	s_andn2_saveexec_b64 s[22:23], s[22:23]
; %bb.989:                              ;   in Loop: Header=BB8_611 Depth=1
	v_or_b32_e32 v3, 0x10000, v2
	v_cmp_eq_u32_sdwa vcc, v2, v53 src0_sel:WORD_0 src1_sel:DWORD
	v_cndmask_b32_e32 v6, v3, v2, vcc
; %bb.990:                              ;   in Loop: Header=BB8_611 Depth=1
	s_or_b64 exec, exec, s[22:23]
	v_and_b32_e32 v2, 0xffff0000, v11
	v_and_b32_e32 v8, 0xffff0000, v10
	v_pk_add_f32 v[2:3], v[2:3], v[8:9] op_sel_hi:[0,1]
	v_and_b32_e32 v3, 0x7f800000, v2
	v_cmp_ne_u32_e32 vcc, s65, v3
                                        ; implicit-def: $vgpr7
	s_and_saveexec_b64 s[22:23], vcc
	s_xor_b64 s[22:23], exec, s[22:23]
; %bb.991:                              ;   in Loop: Header=BB8_611 Depth=1
	v_bfe_u32 v3, v2, 16, 1
	v_add3_u32 v7, v2, v3, s66
                                        ; implicit-def: $vgpr2_vgpr3
; %bb.992:                              ;   in Loop: Header=BB8_611 Depth=1
	s_andn2_saveexec_b64 s[22:23], s[22:23]
; %bb.993:                              ;   in Loop: Header=BB8_611 Depth=1
	v_or_b32_e32 v3, 0x10000, v2
	v_cmp_eq_u32_sdwa vcc, v2, v53 src0_sel:WORD_0 src1_sel:DWORD
	v_cndmask_b32_e32 v7, v3, v2, vcc
; %bb.994:                              ;   in Loop: Header=BB8_611 Depth=1
	s_or_b64 exec, exec, s[22:23]
	v_lshrrev_b32_e32 v2, 16, v5
	v_and_or_b32 v3, v20, s67, v2
	v_lshrrev_b32_e32 v2, 16, v4
	v_lshrrev_b32_e32 v4, 16, v21
	;; [unrolled: 1-line block ×3, first 2 shown]
	v_and_or_b32 v2, v12, s67, v2
	v_and_or_b32 v4, v13, s67, v4
	;; [unrolled: 1-line block ×3, first 2 shown]
	global_store_dwordx4 v[0:1], v[2:5], off glc slc
.LBB8_995:                              ;   in Loop: Header=BB8_611 Depth=1
	s_or_b64 exec, exec, s[20:21]
	v_accvgpr_read_b32 v0, a48
	v_and_b32_e32 v1, 14, v0
	v_cndmask_b32_e64 v0, v17, v1, s[18:19]
	v_mov_b32_e32 v3, v0
	v_cmp_ne_u32_e32 vcc, 0, v0
	s_mov_b64 s[20:21], 0
	v_mov_b32_e32 v19, 0
                                        ; implicit-def: $vgpr20
                                        ; implicit-def: $vgpr0
                                        ; implicit-def: $agpr50_agpr51
	s_and_saveexec_b64 s[22:23], vcc
	s_cbranch_execz .LBB8_997
; %bb.996:                              ;   in Loop: Header=BB8_611 Depth=1
	v_sub_u32_e32 v0, v17, v1
	v_cndmask_b32_e64 v0, 0, v0, s[18:19]
	v_cmp_lt_i32_e32 vcc, 0, v18
	v_add3_u32 v19, v16, v14, v0
	v_cndmask_b32_e32 v0, 0, v30, vcc
	v_sub_u32_e32 v0, v0, v18
	v_lshl_add_u32 v1, v0, 6, v15
	v_ashrrev_i32_e32 v0, 31, v1
	v_lshrrev_b32_e32 v0, 26, v0
	s_trap 2
	ds_read_b64 a[50:51], v0
	v_add_u32_e32 v2, v1, v0
	v_ashrrev_i32_e32 v0, 6, v2
	v_and_b32_e32 v2, 0xffffffc0, v2
	s_mov_b64 s[20:21], exec
	v_sub_u32_e32 v20, v1, v2
.LBB8_997:                              ;   in Loop: Header=BB8_611 Depth=1
	s_or_b64 exec, exec, s[22:23]
	s_and_b64 s[18:19], s[20:21], exec
.LBB8_998:                              ;   in Loop: Header=BB8_611 Depth=1
	s_or_b64 exec, exec, s[44:45]
	s_waitcnt lgkmcnt(0)
	v_accvgpr_read_b32 v6, a50
	v_accvgpr_read_b32 v52, a39
	;; [unrolled: 1-line block ×4, first 2 shown]
	s_and_saveexec_b64 s[22:23], s[18:19]
	s_cbranch_execz .LBB8_1083
.LBB8_999:                              ;   in Loop: Header=BB8_611 Depth=1
	v_lshlrev_b32_e32 v1, 9, v0
	v_lshlrev_b32_e32 v2, 1, v20
	v_add3_u32 v10, v19, v2, v1
	v_ashrrev_i32_e32 v1, 31, v3
	v_lshrrev_b32_e32 v1, 23, v1
	v_add_u32_e32 v1, v3, v1
	v_ashrrev_i32_e32 v14, 9, v1
	v_ashrrev_i32_e32 v11, 31, v10
	v_sub_u32_e32 v12, v14, v0
	s_waitcnt lgkmcnt(0)
	v_add_co_u32_e32 v0, vcc, v6, v10
	v_accvgpr_write_b32 a23, v7
	v_addc_co_u32_e32 v1, vcc, v7, v11, vcc
	v_accvgpr_write_b32 a3, v3
	v_accvgpr_write_b32 a22, v6
	v_cmp_lt_i32_e32 vcc, 0, v12
	s_mov_b64 s[20:21], 0
	v_mov_b32_e32 v4, 0
	v_mov_b32_e32 v15, 0
	;; [unrolled: 1-line block ×8, first 2 shown]
	s_and_saveexec_b64 s[18:19], vcc
	s_cbranch_execz .LBB8_1039
; %bb.1000:                             ;   in Loop: Header=BB8_611 Depth=1
	s_trap 2
	ds_read_b128 v[2:5], v0
	s_mov_b64 s[46:47], 0
	s_mov_b64 s[44:45], 0
                                        ; implicit-def: $sgpr20_sgpr21
                                        ; implicit-def: $vgpr25
                                        ; implicit-def: $vgpr23
                                        ; implicit-def: $vgpr22
                                        ; implicit-def: $vgpr21
                                        ; implicit-def: $vgpr15
                                        ; implicit-def: $vgpr16
                                        ; implicit-def: $vgpr17
                                        ; implicit-def: $vgpr18
	s_waitcnt lgkmcnt(0)
	v_add_co_u32_e32 v2, vcc, v2, v10
	v_addc_co_u32_e32 v3, vcc, v3, v11, vcc
	v_add_co_u32_e32 v10, vcc, v4, v10
	v_addc_co_u32_e32 v11, vcc, v5, v11, vcc
	s_branch .LBB8_1002
.LBB8_1001:                             ;   in Loop: Header=BB8_1002 Depth=2
	s_or_b64 exec, exec, s[48:49]
	flat_store_short_d16_hi v[0:1], v5 glc slc
	flat_store_short_d16_hi v[0:1], v28 offset:128 glc slc
	flat_store_short_d16_hi v[0:1], v6 offset:256 glc slc
	;; [unrolled: 1-line block ×3, first 2 shown]
	v_accvgpr_read_b32 v6, a36
	v_add_co_u32_e32 v4, vcc, v2, v6
	v_accvgpr_read_b32 v7, a37
	v_addc_co_u32_e32 v5, vcc, v3, v7, vcc
	v_add_co_u32_e32 v6, vcc, v10, v6
	v_mov_b32_e32 v9, 0x200
	v_addc_co_u32_e32 v7, vcc, v11, v7, vcc
	v_cndmask_b32_e64 v9, v9, v55, s[46:47]
	v_cndmask_b32_e64 v8, 0, v52, s[46:47]
	v_add_co_u32_e32 v0, vcc, v0, v9
	v_cndmask_b32_e64 v2, v2, v4, s[46:47]
	v_cndmask_b32_e64 v4, 0, v30, s[46:47]
	v_addc_co_u32_e32 v1, vcc, v1, v8, vcc
	v_sub_u32_e32 v12, v32, v4
	v_cmp_gt_i32_e32 vcc, 1, v12
	s_or_b64 s[44:45], vcc, s[44:45]
	s_andn2_b64 s[20:21], s[20:21], exec
	s_and_b64 vcc, s[46:47], exec
	v_cndmask_b32_e64 v3, v3, v5, s[46:47]
	v_cndmask_b32_e64 v11, v11, v7, s[46:47]
	v_cndmask_b32_e64 v10, v10, v6, s[46:47]
	s_or_b64 s[20:21], s[20:21], vcc
	s_andn2_b64 exec, exec, s[44:45]
	s_cbranch_execz .LBB8_1038
.LBB8_1002:                             ;   Parent Loop BB8_611 Depth=1
                                        ; =>  This Inner Loop Header: Depth=2
	flat_load_ushort v13, v[2:3] glc slc
	flat_load_ushort v28, v[2:3] offset:128 glc slc
	flat_load_ushort v26, v[2:3] offset:256 glc slc
	;; [unrolled: 1-line block ×3, first 2 shown]
	flat_load_ushort v31, v[10:11] glc slc
	flat_load_ushort v29, v[10:11] offset:128 glc slc
	flat_load_ushort v27, v[10:11] offset:256 glc slc
	;; [unrolled: 1-line block ×3, first 2 shown]
	s_and_saveexec_b64 s[48:49], s[46:47]
	s_cbranch_execz .LBB8_1020
; %bb.1003:                             ;   in Loop: Header=BB8_1002 Depth=2
	v_lshlrev_b32_e32 v5, 16, v25
	v_lshlrev_b32_e32 v6, 16, v15
	v_add_f32_e32 v6, v5, v6
	v_and_b32_e32 v5, 0x7f800000, v6
	v_cmp_ne_u32_e32 vcc, s65, v5
                                        ; implicit-def: $vgpr5
	s_and_saveexec_b64 s[46:47], vcc
	s_xor_b64 vcc, exec, s[46:47]
; %bb.1004:                             ;   in Loop: Header=BB8_1002 Depth=2
	v_bfe_u32 v5, v6, 16, 1
	v_add3_u32 v5, v6, v5, s66
                                        ; implicit-def: $vgpr6
; %bb.1005:                             ;   in Loop: Header=BB8_1002 Depth=2
	s_andn2_saveexec_b64 s[46:47], vcc
; %bb.1006:                             ;   in Loop: Header=BB8_1002 Depth=2
	v_or_b32_e32 v5, 0x10000, v6
	v_cmp_eq_u32_sdwa vcc, v6, v53 src0_sel:WORD_0 src1_sel:DWORD
	v_cndmask_b32_e32 v5, v5, v6, vcc
; %bb.1007:                             ;   in Loop: Header=BB8_1002 Depth=2
	s_or_b64 exec, exec, s[46:47]
	v_lshlrev_b32_e32 v6, 16, v23
	v_lshlrev_b32_e32 v7, 16, v16
	v_add_f32_e32 v6, v6, v7
	v_and_b32_e32 v7, 0x7f800000, v6
	v_cmp_ne_u32_e32 vcc, s65, v7
                                        ; implicit-def: $vgpr23
	s_and_saveexec_b64 s[46:47], vcc
	s_xor_b64 vcc, exec, s[46:47]
; %bb.1008:                             ;   in Loop: Header=BB8_1002 Depth=2
	v_bfe_u32 v7, v6, 16, 1
	v_add3_u32 v23, v6, v7, s66
                                        ; implicit-def: $vgpr6
; %bb.1009:                             ;   in Loop: Header=BB8_1002 Depth=2
	s_andn2_saveexec_b64 s[46:47], vcc
; %bb.1010:                             ;   in Loop: Header=BB8_1002 Depth=2
	v_or_b32_e32 v7, 0x10000, v6
	v_cmp_eq_u32_sdwa vcc, v6, v53 src0_sel:WORD_0 src1_sel:DWORD
	v_cndmask_b32_e32 v23, v7, v6, vcc
; %bb.1011:                             ;   in Loop: Header=BB8_1002 Depth=2
	s_or_b64 exec, exec, s[46:47]
	v_lshlrev_b32_e32 v6, 16, v22
	v_lshlrev_b32_e32 v7, 16, v17
	v_add_f32_e32 v7, v6, v7
	v_and_b32_e32 v6, 0x7f800000, v7
	v_cmp_ne_u32_e32 vcc, s65, v6
                                        ; implicit-def: $vgpr6
	s_and_saveexec_b64 s[46:47], vcc
	s_xor_b64 vcc, exec, s[46:47]
; %bb.1012:                             ;   in Loop: Header=BB8_1002 Depth=2
	v_bfe_u32 v6, v7, 16, 1
	v_add3_u32 v6, v7, v6, s66
                                        ; implicit-def: $vgpr7
; %bb.1013:                             ;   in Loop: Header=BB8_1002 Depth=2
	s_andn2_saveexec_b64 s[46:47], vcc
; %bb.1014:                             ;   in Loop: Header=BB8_1002 Depth=2
	v_or_b32_e32 v6, 0x10000, v7
	v_cmp_eq_u32_sdwa vcc, v7, v53 src0_sel:WORD_0 src1_sel:DWORD
	v_cndmask_b32_e32 v6, v6, v7, vcc
; %bb.1015:                             ;   in Loop: Header=BB8_1002 Depth=2
	s_or_b64 exec, exec, s[46:47]
	v_lshlrev_b32_e32 v7, 16, v21
	v_lshlrev_b32_e32 v8, 16, v18
	v_add_f32_e32 v8, v7, v8
	v_and_b32_e32 v7, 0x7f800000, v8
	v_cmp_ne_u32_e32 vcc, s65, v7
                                        ; implicit-def: $vgpr7
	s_and_saveexec_b64 s[46:47], vcc
	s_xor_b64 vcc, exec, s[46:47]
; %bb.1016:                             ;   in Loop: Header=BB8_1002 Depth=2
	v_bfe_u32 v7, v8, 16, 1
	v_add3_u32 v7, v8, v7, s66
                                        ; implicit-def: $vgpr8
; %bb.1017:                             ;   in Loop: Header=BB8_1002 Depth=2
	s_andn2_saveexec_b64 s[46:47], vcc
; %bb.1018:                             ;   in Loop: Header=BB8_1002 Depth=2
	v_or_b32_e32 v7, 0x10000, v8
	v_cmp_eq_u32_sdwa vcc, v8, v53 src0_sel:WORD_0 src1_sel:DWORD
	v_cndmask_b32_e32 v7, v7, v8, vcc
; %bb.1019:                             ;   in Loop: Header=BB8_1002 Depth=2
	s_or_b64 exec, exec, s[46:47]
	v_lshrrev_b32_e32 v25, 16, v5
	v_lshrrev_b32_e32 v22, 16, v6
	;; [unrolled: 1-line block ×4, first 2 shown]
	flat_store_short v[0:1], v25 glc slc
	flat_store_short v[0:1], v23 offset:128 glc slc
	flat_store_short v[0:1], v22 offset:256 glc slc
	;; [unrolled: 1-line block ×3, first 2 shown]
	v_add_co_u32_e32 v0, vcc, v0, v55
	v_addc_co_u32_e32 v1, vcc, v1, v52, vcc
.LBB8_1020:                             ;   in Loop: Header=BB8_1002 Depth=2
	s_or_b64 exec, exec, s[48:49]
	v_add_co_u32_e32 v2, vcc, v2, v55
	v_addc_co_u32_e32 v3, vcc, v3, v52, vcc
	v_add_co_u32_e32 v10, vcc, v10, v55
	v_sub_u32_e32 v32, v12, v30
	v_addc_co_u32_e32 v11, vcc, v11, v52, vcc
	v_cmp_lt_i32_e64 s[46:47], 0, v32
	s_and_saveexec_b64 s[48:49], s[46:47]
	s_cbranch_execz .LBB8_1022
; %bb.1021:                             ;   in Loop: Header=BB8_1002 Depth=2
	flat_load_ushort v25, v[2:3] glc slc
	flat_load_ushort v23, v[2:3] offset:128 glc slc
	flat_load_ushort v22, v[2:3] offset:256 glc slc
	;; [unrolled: 1-line block ×3, first 2 shown]
	flat_load_ushort v15, v[10:11] glc slc
	flat_load_ushort v16, v[10:11] offset:128 glc slc
	flat_load_ushort v17, v[10:11] offset:256 glc slc
	;; [unrolled: 1-line block ×3, first 2 shown]
	v_add_co_u32_e32 v2, vcc, 0x200, v2
	v_addc_co_u32_e32 v3, vcc, 0, v3, vcc
	v_add_co_u32_e32 v10, vcc, 0x200, v10
	v_addc_co_u32_e32 v11, vcc, 0, v11, vcc
.LBB8_1022:                             ;   in Loop: Header=BB8_1002 Depth=2
	s_or_b64 exec, exec, s[48:49]
	s_waitcnt vmcnt(0) lgkmcnt(0)
	v_lshlrev_b32_e32 v6, 16, v31
	v_lshlrev_b32_e32 v8, 16, v13
	v_pk_add_f32 v[12:13], v[6:7], v[8:9] op_sel_hi:[0,1]
	v_and_b32_e32 v5, 0x7f800000, v12
	v_cmp_ne_u32_e32 vcc, s65, v5
                                        ; implicit-def: $vgpr5
	s_and_saveexec_b64 s[48:49], vcc
	s_xor_b64 vcc, exec, s[48:49]
; %bb.1023:                             ;   in Loop: Header=BB8_1002 Depth=2
	v_bfe_u32 v5, v12, 16, 1
	v_add3_u32 v5, v12, v5, s66
                                        ; implicit-def: $vgpr12_vgpr13
; %bb.1024:                             ;   in Loop: Header=BB8_1002 Depth=2
	s_andn2_saveexec_b64 s[48:49], vcc
; %bb.1025:                             ;   in Loop: Header=BB8_1002 Depth=2
	v_or_b32_e32 v5, 0x10000, v12
	v_cmp_eq_u32_sdwa vcc, v12, v53 src0_sel:WORD_0 src1_sel:DWORD
	v_cndmask_b32_e32 v5, v5, v12, vcc
; %bb.1026:                             ;   in Loop: Header=BB8_1002 Depth=2
	s_or_b64 exec, exec, s[48:49]
	v_lshlrev_b32_e32 v6, 16, v29
	v_lshlrev_b32_e32 v8, 16, v28
	v_pk_add_f32 v[12:13], v[6:7], v[8:9] op_sel_hi:[0,1]
	v_and_b32_e32 v6, 0x7f800000, v12
	v_cmp_ne_u32_e32 vcc, s65, v6
                                        ; implicit-def: $vgpr28
	s_and_saveexec_b64 s[48:49], vcc
	s_xor_b64 vcc, exec, s[48:49]
; %bb.1027:                             ;   in Loop: Header=BB8_1002 Depth=2
	v_bfe_u32 v6, v12, 16, 1
	v_add3_u32 v28, v12, v6, s66
                                        ; implicit-def: $vgpr12_vgpr13
; %bb.1028:                             ;   in Loop: Header=BB8_1002 Depth=2
	s_andn2_saveexec_b64 s[48:49], vcc
; %bb.1029:                             ;   in Loop: Header=BB8_1002 Depth=2
	v_or_b32_e32 v6, 0x10000, v12
	v_cmp_eq_u32_sdwa vcc, v12, v53 src0_sel:WORD_0 src1_sel:DWORD
	v_cndmask_b32_e32 v28, v6, v12, vcc
; %bb.1030:                             ;   in Loop: Header=BB8_1002 Depth=2
	s_or_b64 exec, exec, s[48:49]
	v_lshlrev_b32_e32 v6, 16, v27
	v_lshlrev_b32_e32 v8, 16, v26
	v_pk_add_f32 v[12:13], v[6:7], v[8:9] op_sel_hi:[0,1]
	v_and_b32_e32 v6, 0x7f800000, v12
	v_cmp_ne_u32_e32 vcc, s65, v6
                                        ; implicit-def: $vgpr6
	s_and_saveexec_b64 s[48:49], vcc
	s_xor_b64 vcc, exec, s[48:49]
; %bb.1031:                             ;   in Loop: Header=BB8_1002 Depth=2
	v_bfe_u32 v6, v12, 16, 1
	v_add3_u32 v6, v12, v6, s66
                                        ; implicit-def: $vgpr12_vgpr13
; %bb.1032:                             ;   in Loop: Header=BB8_1002 Depth=2
	s_andn2_saveexec_b64 s[48:49], vcc
; %bb.1033:                             ;   in Loop: Header=BB8_1002 Depth=2
	v_or_b32_e32 v6, 0x10000, v12
	v_cmp_eq_u32_sdwa vcc, v12, v53 src0_sel:WORD_0 src1_sel:DWORD
	v_cndmask_b32_e32 v6, v6, v12, vcc
; %bb.1034:                             ;   in Loop: Header=BB8_1002 Depth=2
	s_or_b64 exec, exec, s[48:49]
	v_lshlrev_b32_e32 v4, 16, v4
	v_lshlrev_b32_e32 v8, 16, v24
	v_pk_add_f32 v[12:13], v[4:5], v[8:9] op_sel_hi:[0,1]
	v_and_b32_e32 v4, 0x7f800000, v12
	v_cmp_ne_u32_e32 vcc, s65, v4
                                        ; implicit-def: $vgpr4
	s_and_saveexec_b64 s[48:49], vcc
	s_xor_b64 vcc, exec, s[48:49]
; %bb.1035:                             ;   in Loop: Header=BB8_1002 Depth=2
	v_bfe_u32 v4, v12, 16, 1
	v_add3_u32 v4, v12, v4, s66
                                        ; implicit-def: $vgpr12_vgpr13
; %bb.1036:                             ;   in Loop: Header=BB8_1002 Depth=2
	s_andn2_saveexec_b64 s[48:49], vcc
	s_cbranch_execz .LBB8_1001
; %bb.1037:                             ;   in Loop: Header=BB8_1002 Depth=2
	v_or_b32_e32 v4, 0x10000, v12
	v_cmp_eq_u32_sdwa vcc, v12, v53 src0_sel:WORD_0 src1_sel:DWORD
	v_cndmask_b32_e32 v4, v4, v12, vcc
	s_branch .LBB8_1001
.LBB8_1038:                             ;   in Loop: Header=BB8_611 Depth=1
	s_or_b64 exec, exec, s[44:45]
	v_lshlrev_b32_e32 v4, 16, v25
	v_lshlrev_b32_e32 v7, 16, v15
	;; [unrolled: 1-line block ×8, first 2 shown]
	s_and_b64 s[20:21], s[20:21], exec
	v_accvgpr_read_b32 v27, a40
	v_accvgpr_read_b32 v28, a43
	;; [unrolled: 1-line block ×3, first 2 shown]
.LBB8_1039:                             ;   in Loop: Header=BB8_611 Depth=1
	s_or_b64 exec, exec, s[18:19]
	s_and_saveexec_b64 s[18:19], s[20:21]
	s_cbranch_execz .LBB8_1057
; %bb.1040:                             ;   in Loop: Header=BB8_611 Depth=1
	v_add_f32_e32 v7, v7, v4
	v_and_b32_e32 v4, 0x7f800000, v7
	v_cmp_ne_u32_e32 vcc, s65, v4
                                        ; implicit-def: $vgpr4
	s_and_saveexec_b64 s[20:21], vcc
	s_xor_b64 s[20:21], exec, s[20:21]
; %bb.1041:                             ;   in Loop: Header=BB8_611 Depth=1
	v_bfe_u32 v4, v7, 16, 1
	v_add3_u32 v4, v7, v4, s66
                                        ; implicit-def: $vgpr7
; %bb.1042:                             ;   in Loop: Header=BB8_611 Depth=1
	s_andn2_saveexec_b64 s[20:21], s[20:21]
; %bb.1043:                             ;   in Loop: Header=BB8_611 Depth=1
	v_or_b32_e32 v4, 0x10000, v7
	v_cmp_eq_u32_sdwa vcc, v7, v53 src0_sel:WORD_0 src1_sel:DWORD
	v_cndmask_b32_e32 v4, v4, v7, vcc
; %bb.1044:                             ;   in Loop: Header=BB8_611 Depth=1
	s_or_b64 exec, exec, s[20:21]
	v_add_f32_e32 v6, v6, v15
	v_and_b32_e32 v7, 0x7f800000, v6
	v_cmp_ne_u32_e32 vcc, s65, v7
                                        ; implicit-def: $vgpr10
	s_and_saveexec_b64 s[20:21], vcc
	s_xor_b64 s[20:21], exec, s[20:21]
; %bb.1045:                             ;   in Loop: Header=BB8_611 Depth=1
	v_bfe_u32 v7, v6, 16, 1
	v_add3_u32 v10, v6, v7, s66
                                        ; implicit-def: $vgpr6
; %bb.1046:                             ;   in Loop: Header=BB8_611 Depth=1
	s_andn2_saveexec_b64 s[20:21], s[20:21]
; %bb.1047:                             ;   in Loop: Header=BB8_611 Depth=1
	v_or_b32_e32 v7, 0x10000, v6
	v_cmp_eq_u32_sdwa vcc, v6, v53 src0_sel:WORD_0 src1_sel:DWORD
	v_cndmask_b32_e32 v10, v7, v6, vcc
; %bb.1048:                             ;   in Loop: Header=BB8_611 Depth=1
	s_or_b64 exec, exec, s[20:21]
	v_add_f32_e32 v6, v13, v5
	v_and_b32_e32 v5, 0x7f800000, v6
	v_cmp_ne_u32_e32 vcc, s65, v5
                                        ; implicit-def: $vgpr5
	s_and_saveexec_b64 s[20:21], vcc
	s_xor_b64 s[20:21], exec, s[20:21]
; %bb.1049:                             ;   in Loop: Header=BB8_611 Depth=1
	v_bfe_u32 v5, v6, 16, 1
	v_add3_u32 v5, v6, v5, s66
                                        ; implicit-def: $vgpr6
; %bb.1050:                             ;   in Loop: Header=BB8_611 Depth=1
	s_andn2_saveexec_b64 s[20:21], s[20:21]
; %bb.1051:                             ;   in Loop: Header=BB8_611 Depth=1
	v_or_b32_e32 v5, 0x10000, v6
	v_cmp_eq_u32_sdwa vcc, v6, v53 src0_sel:WORD_0 src1_sel:DWORD
	v_cndmask_b32_e32 v5, v5, v6, vcc
; %bb.1052:                             ;   in Loop: Header=BB8_611 Depth=1
	s_or_b64 exec, exec, s[20:21]
	v_add_f32_e32 v3, v3, v2
	v_and_b32_e32 v2, 0x7f800000, v3
	v_cmp_ne_u32_e32 vcc, s65, v2
                                        ; implicit-def: $vgpr2
	s_and_saveexec_b64 s[20:21], vcc
	s_xor_b64 s[20:21], exec, s[20:21]
; %bb.1053:                             ;   in Loop: Header=BB8_611 Depth=1
	v_bfe_u32 v2, v3, 16, 1
	v_add3_u32 v2, v3, v2, s66
                                        ; implicit-def: $vgpr3
; %bb.1054:                             ;   in Loop: Header=BB8_611 Depth=1
	s_andn2_saveexec_b64 s[20:21], s[20:21]
; %bb.1055:                             ;   in Loop: Header=BB8_611 Depth=1
	v_or_b32_e32 v2, 0x10000, v3
	v_cmp_eq_u32_sdwa vcc, v3, v53 src0_sel:WORD_0 src1_sel:DWORD
	v_cndmask_b32_e32 v2, v2, v3, vcc
; %bb.1056:                             ;   in Loop: Header=BB8_611 Depth=1
	s_or_b64 exec, exec, s[20:21]
	flat_store_short_d16_hi v[0:1], v4 glc slc
	flat_store_short_d16_hi v[0:1], v10 offset:128 glc slc
	flat_store_short_d16_hi v[0:1], v5 offset:256 glc slc
	;; [unrolled: 1-line block ×3, first 2 shown]
.LBB8_1057:                             ;   in Loop: Header=BB8_611 Depth=1
	s_or_b64 exec, exec, s[18:19]
	v_lshlrev_b32_e32 v0, 9, v14
	v_accvgpr_read_b32 v4, a3
	v_cmp_ne_u32_e32 vcc, v4, v0
	v_accvgpr_read_b32 v6, a22
	s_and_b64 s[18:19], exec, vcc
	v_accvgpr_read_b32 v5, a47
	v_accvgpr_read_b32 v7, a23
	s_mov_b64 exec, s[18:19]
	s_cbranch_execz .LBB8_1083
; %bb.1058:                             ;   in Loop: Header=BB8_611 Depth=1
	v_lshlrev_b32_e32 v1, 6, v12
	v_sub_u32_e32 v1, v20, v1
	v_ashrrev_i32_e32 v2, 31, v1
	v_lshrrev_b32_e32 v2, 26, v2
	v_add_u32_e32 v2, v1, v2
	v_and_b32_e32 v3, 0x7fffffc0, v2
	v_sub_u32_e32 v1, v1, v3
	v_lshlrev_b32_e32 v2, 1, v2
	v_and_b32_e32 v2, 0xffffff80, v2
	v_lshlrev_b32_e32 v1, 1, v1
	v_add3_u32 v0, v2, v1, v0
	v_add_u32_e32 v2, v0, v19
	v_ashrrev_i32_e32 v1, 31, v2
	v_add_co_u32_e32 v12, vcc, v2, v6
	v_sub_u32_e32 v4, v4, v0
	v_addc_co_u32_e32 v13, vcc, v1, v7, vcc
	v_cmp_lt_i32_e32 vcc, 1, v4
	s_mov_b64 s[18:19], 0
	s_and_saveexec_b64 s[44:45], vcc
	s_cbranch_execz .LBB8_1077
; %bb.1059:                             ;   in Loop: Header=BB8_611 Depth=1
	s_trap 2
	ds_read_b128 v[6:9], v0
	s_mov_b64 s[50:51], 0
	s_mov_b64 s[46:47], 0
                                        ; implicit-def: $sgpr48_sgpr49
	s_waitcnt lgkmcnt(0)
	v_add_co_u32_e32 v0, vcc, v6, v2
	v_addc_co_u32_e32 v11, vcc, v7, v1, vcc
	v_add_co_u32_e32 v2, vcc, v8, v2
	v_addc_co_u32_e32 v3, vcc, v9, v1, vcc
	s_branch .LBB8_1061
.LBB8_1060:                             ;   in Loop: Header=BB8_1061 Depth=2
	s_or_b64 exec, exec, s[18:19]
	v_lshrrev_b32_e32 v4, 16, v4
	v_accvgpr_read_b32 v6, a42
	buffer_store_short v4, off, s[0:3], s33 offset:160
	flat_store_short v[12:13], v4 glc slc
	v_add_co_u32_e32 v4, vcc, v0, v6
	v_accvgpr_read_b32 v7, a41
	v_addc_co_u32_e32 v5, vcc, v11, v7, vcc
	v_add_co_u32_e32 v6, vcc, v2, v6
	v_mov_b32_e32 v9, 0x80
	v_addc_co_u32_e32 v7, vcc, v3, v7, vcc
	v_cndmask_b32_e64 v9, v9, v28, s[50:51]
	v_cndmask_b32_e64 v8, 0, v29, s[50:51]
	v_add_co_u32_e32 v12, vcc, v12, v9
	v_cndmask_b32_e64 v0, v0, v4, s[50:51]
	v_cndmask_b32_e64 v4, 0, v27, s[50:51]
	v_addc_co_u32_e32 v13, vcc, v13, v8, vcc
	v_sub_u32_e32 v4, v1, v4
	v_cmp_gt_i32_e32 vcc, 2, v4
	s_or_b64 s[46:47], vcc, s[46:47]
	s_andn2_b64 s[18:19], s[48:49], exec
	s_and_b64 s[20:21], s[50:51], exec
	v_cndmask_b32_e64 v3, v3, v7, s[50:51]
	v_cndmask_b32_e64 v2, v2, v6, s[50:51]
	;; [unrolled: 1-line block ×3, first 2 shown]
	s_or_b64 s[48:49], s[18:19], s[20:21]
	v_accvgpr_read_b32 v5, a47
	s_andn2_b64 exec, exec, s[46:47]
	s_cbranch_execz .LBB8_1076
.LBB8_1061:                             ;   Parent Loop BB8_611 Depth=1
                                        ; =>  This Loop Header: Depth=2
                                        ;       Child Loop BB8_1062 Depth 3
                                        ;       Child Loop BB8_1071 Depth 3
	v_lshrrev_b32_e64 v1, 6, s33
	v_add_u32_e32 v1, 0xa0, v1
	s_mov_b64 s[52:53], -1
	s_mov_b64 s[54:55], 0
.LBB8_1062:                             ;   Parent Loop BB8_611 Depth=1
                                        ;     Parent Loop BB8_1061 Depth=2
                                        ; =>    This Inner Loop Header: Depth=3
	s_cmp_eq_u32 s54, 1
	s_cselect_b64 s[18:19], -1, 0
	v_cndmask_b32_e64 v7, v11, v3, s[18:19]
	v_cndmask_b32_e64 v6, v0, v2, s[18:19]
	flat_load_ushort v5, v[6:7] glc slc
	v_add_co_u32_e32 v6, vcc, 0x80, v6
	s_cmp_eq_u32 s54, 0
	v_addc_co_u32_e32 v7, vcc, 0, v7, vcc
	s_cselect_b64 vcc, -1, 0
	s_and_b64 s[20:21], exec, s[52:53]
	s_mov_b64 s[54:55], 1
	v_cndmask_b32_e64 v2, v2, v6, s[18:19]
	s_mov_b64 s[52:53], 0
	v_cndmask_b32_e64 v3, v3, v7, s[18:19]
	v_cndmask_b32_e32 v11, v11, v7, vcc
	v_cndmask_b32_e32 v0, v0, v6, vcc
	s_mov_b64 vcc, s[20:21]
	s_waitcnt vmcnt(0) lgkmcnt(0)
	buffer_store_short v5, v1, s[0:3], 0 offen
	v_lshrrev_b32_e64 v1, 6, s33
	v_add_u32_e32 v1, 0xc0, v1
	s_cbranch_vccnz .LBB8_1062
; %bb.1063:                             ;   in Loop: Header=BB8_1061 Depth=2
	s_and_saveexec_b64 s[18:19], s[50:51]
	s_cbranch_execz .LBB8_1069
; %bb.1064:                             ;   in Loop: Header=BB8_1061 Depth=2
	buffer_load_ushort v1, off, s[0:3], s33 offset:154
	buffer_load_ushort v5, off, s[0:3], s33 offset:152
	s_waitcnt vmcnt(1)
	v_lshlrev_b32_e32 v6, 16, v1
	s_waitcnt vmcnt(0)
	v_lshlrev_b32_e32 v8, 16, v5
	v_pk_add_f32 v[14:15], v[6:7], v[8:9] op_sel_hi:[0,1]
	v_and_b32_e32 v1, 0x7f800000, v14
	v_cmp_ne_u32_e32 vcc, s65, v1
                                        ; implicit-def: $vgpr1
	s_and_saveexec_b64 s[20:21], vcc
	s_xor_b64 s[20:21], exec, s[20:21]
; %bb.1065:                             ;   in Loop: Header=BB8_1061 Depth=2
	v_bfe_u32 v1, v14, 16, 1
	v_add3_u32 v1, v14, v1, s66
                                        ; implicit-def: $vgpr14_vgpr15
; %bb.1066:                             ;   in Loop: Header=BB8_1061 Depth=2
	s_andn2_saveexec_b64 s[20:21], s[20:21]
; %bb.1067:                             ;   in Loop: Header=BB8_1061 Depth=2
	v_or_b32_e32 v1, 0x10000, v14
	v_cmp_eq_u32_sdwa vcc, v14, v53 src0_sel:WORD_0 src1_sel:DWORD
	v_cndmask_b32_e32 v1, v1, v14, vcc
; %bb.1068:                             ;   in Loop: Header=BB8_1061 Depth=2
	s_or_b64 exec, exec, s[20:21]
	v_lshrrev_b32_e32 v1, 16, v1
	flat_store_short v[12:13], v1 glc slc
	v_add_co_u32_e32 v12, vcc, v12, v28
	v_addc_co_u32_e32 v13, vcc, v13, v29, vcc
	buffer_store_short v1, off, s[0:3], s33 offset:152
.LBB8_1069:                             ;   in Loop: Header=BB8_1061 Depth=2
	s_or_b64 exec, exec, s[18:19]
	v_accvgpr_read_b32 v6, a42
	v_add_co_u32_e32 v0, vcc, v0, v6
	v_accvgpr_read_b32 v1, a41
	v_addc_co_u32_e32 v11, vcc, v11, v1, vcc
	v_add_co_u32_e32 v2, vcc, v2, v6
	v_addc_co_u32_e32 v3, vcc, v3, v1, vcc
	v_sub_u32_e32 v1, v4, v27
	v_cmp_lt_i32_e64 s[50:51], 1, v1
	s_and_saveexec_b64 s[52:53], s[50:51]
	s_cbranch_execz .LBB8_1072
; %bb.1070:                             ;   in Loop: Header=BB8_1061 Depth=2
	v_lshrrev_b32_e64 v4, 6, s33
	v_add_u32_e32 v4, 0x98, v4
	s_mov_b64 s[56:57], 0
	s_mov_b64 s[54:55], -1
.LBB8_1071:                             ;   Parent Loop BB8_611 Depth=1
                                        ;     Parent Loop BB8_1061 Depth=2
                                        ; =>    This Inner Loop Header: Depth=3
	s_cmp_eq_u32 s56, 1
	s_cselect_b64 s[18:19], -1, 0
	v_cndmask_b32_e64 v7, v11, v3, s[18:19]
	v_cndmask_b32_e64 v6, v0, v2, s[18:19]
	flat_load_ushort v5, v[6:7] glc slc
	v_add_co_u32_e32 v6, vcc, 0x80, v6
	s_cmp_eq_u32 s56, 0
	v_addc_co_u32_e32 v7, vcc, 0, v7, vcc
	s_cselect_b64 vcc, -1, 0
	s_and_b64 s[20:21], exec, s[54:55]
	s_mov_b64 s[56:57], 1
	v_cndmask_b32_e64 v2, v2, v6, s[18:19]
	s_mov_b64 s[54:55], 0
	v_cndmask_b32_e32 v11, v11, v7, vcc
	v_cndmask_b32_e32 v0, v0, v6, vcc
	v_cndmask_b32_e64 v3, v3, v7, s[18:19]
	s_mov_b64 vcc, s[20:21]
	s_waitcnt vmcnt(0) lgkmcnt(0)
	buffer_store_short v5, v4, s[0:3], 0 offen
	v_lshrrev_b32_e64 v4, 6, s33
	v_add_u32_e32 v4, 0x9a, v4
	s_cbranch_vccnz .LBB8_1071
.LBB8_1072:                             ;   in Loop: Header=BB8_1061 Depth=2
	s_or_b64 exec, exec, s[52:53]
	buffer_load_ushort v4, off, s[0:3], s33 offset:192
	buffer_load_ushort v5, off, s[0:3], s33 offset:160
	s_waitcnt vmcnt(0)
	v_lshlrev_b32_e32 v4, 16, v4
	v_lshlrev_b32_e32 v6, 16, v5
	v_pk_add_f32 v[14:15], v[4:5], v[6:7] op_sel_hi:[0,1]
	v_and_b32_e32 v4, 0x7f800000, v14
	v_cmp_ne_u32_e32 vcc, s65, v4
                                        ; implicit-def: $vgpr4
	s_and_saveexec_b64 s[18:19], vcc
	s_xor_b64 s[18:19], exec, s[18:19]
; %bb.1073:                             ;   in Loop: Header=BB8_1061 Depth=2
	v_bfe_u32 v4, v14, 16, 1
	v_add3_u32 v4, v14, v4, s66
                                        ; implicit-def: $vgpr14_vgpr15
; %bb.1074:                             ;   in Loop: Header=BB8_1061 Depth=2
	s_andn2_saveexec_b64 s[18:19], s[18:19]
	s_cbranch_execz .LBB8_1060
; %bb.1075:                             ;   in Loop: Header=BB8_1061 Depth=2
	v_or_b32_e32 v4, 0x10000, v14
	v_cmp_eq_u32_sdwa vcc, v14, v53 src0_sel:WORD_0 src1_sel:DWORD
	v_cndmask_b32_e32 v4, v4, v14, vcc
	s_branch .LBB8_1060
.LBB8_1076:                             ;   in Loop: Header=BB8_611 Depth=1
	s_or_b64 exec, exec, s[46:47]
	s_and_b64 s[18:19], s[48:49], exec
.LBB8_1077:                             ;   in Loop: Header=BB8_611 Depth=1
	s_or_b64 exec, exec, s[44:45]
	s_and_b64 exec, exec, s[18:19]
	s_cbranch_execz .LBB8_1083
; %bb.1078:                             ;   in Loop: Header=BB8_611 Depth=1
	buffer_load_ushort v0, off, s[0:3], s33 offset:154
	buffer_load_ushort v1, off, s[0:3], s33 offset:152
	s_waitcnt vmcnt(0)
	v_lshlrev_b32_e32 v0, 16, v0
	v_lshlrev_b32_e32 v2, 16, v1
	v_pk_add_f32 v[0:1], v[0:1], v[2:3] op_sel_hi:[0,1]
	v_and_b32_e32 v1, 0x7f800000, v0
	v_cmp_ne_u32_e32 vcc, s65, v1
                                        ; implicit-def: $vgpr2
	s_and_saveexec_b64 s[18:19], vcc
	s_xor_b64 s[18:19], exec, s[18:19]
; %bb.1079:                             ;   in Loop: Header=BB8_611 Depth=1
	v_bfe_u32 v1, v0, 16, 1
	v_add3_u32 v2, v0, v1, s66
                                        ; implicit-def: $vgpr0_vgpr1
; %bb.1080:                             ;   in Loop: Header=BB8_611 Depth=1
	s_andn2_saveexec_b64 s[18:19], s[18:19]
; %bb.1081:                             ;   in Loop: Header=BB8_611 Depth=1
	v_or_b32_e32 v1, 0x10000, v0
	v_cmp_eq_u32_sdwa vcc, v0, v53 src0_sel:WORD_0 src1_sel:DWORD
	v_cndmask_b32_e32 v2, v1, v0, vcc
; %bb.1082:                             ;   in Loop: Header=BB8_611 Depth=1
	s_or_b64 exec, exec, s[18:19]
	flat_store_short_d16_hi v[12:13], v2 glc slc
.LBB8_1083:                             ;   in Loop: Header=BB8_611 Depth=1
	s_or_b64 exec, exec, s[22:23]
	v_cmp_ne_u32_e64 s[18:19], 0, v5
	v_accvgpr_read_b32 v8, a45
.LBB8_1084:                             ;   in Loop: Header=BB8_611 Depth=1
	s_and_saveexec_b64 s[20:21], s[10:11]
	s_cbranch_execz .LBB8_1103
; %bb.1085:                             ;   in Loop: Header=BB8_611 Depth=1
	s_and_saveexec_b64 s[22:23], s[34:35]
	s_xor_b64 s[22:23], exec, s[22:23]
	s_cbranch_execz .LBB8_1100
; %bb.1086:                             ;   in Loop: Header=BB8_611 Depth=1
	s_and_saveexec_b64 s[44:45], s[12:13]
	s_cbranch_execz .LBB8_1099
; %bb.1087:                             ;   in Loop: Header=BB8_611 Depth=1
	s_mov_b64 s[48:49], exec
	v_mbcnt_lo_u32_b32 v0, s48, 0
	v_mbcnt_hi_u32_b32 v0, s49, v0
	v_cmp_eq_u32_e32 vcc, 0, v0
	s_waitcnt vmcnt(0) lgkmcnt(0)
	buffer_wbinvl1_vol
	s_and_saveexec_b64 s[46:47], vcc
	s_cbranch_execz .LBB8_1089
; %bb.1088:                             ;   in Loop: Header=BB8_611 Depth=1
	s_bcnt1_i32_b64 vcc_lo, s[48:49]
	v_mov_b32_e32 v52, vcc_lo
	ds_add_u64 v0, v[52:53]
	v_accvgpr_read_b32 v52, a39
	s_trap 2
.LBB8_1089:                             ;   in Loop: Header=BB8_611 Depth=1
	s_or_b64 exec, exec, s[46:47]
	s_trap 2
	ds_read_b64 v[0:1], v0
	v_accvgpr_read_b32 v2, a20
	v_accvgpr_read_b32 v3, a21
	v_add_co_u32_e32 v2, vcc, v2, v30
	v_addc_co_u32_e32 v3, vcc, 0, v3, vcc
	v_accvgpr_write_b32 a21, v3
	v_accvgpr_write_b32 a20, v2
	s_waitcnt lgkmcnt(0)
	v_cmp_lt_u64_e32 vcc, v[0:1], v[2:3]
	s_and_saveexec_b64 s[46:47], vcc
	s_cbranch_execz .LBB8_1098
; %bb.1090:                             ;   in Loop: Header=BB8_611 Depth=1
	s_mov_b32 s58, 0
	s_mov_b64 s[48:49], 0
                                        ; implicit-def: $sgpr50_sgpr51
                                        ; implicit-def: $sgpr52_sgpr53
	s_branch .LBB8_1092
.LBB8_1091:                             ;   in Loop: Header=BB8_1092 Depth=2
	s_or_b64 exec, exec, s[56:57]
	s_and_b64 vcc, exec, vcc
	s_or_b64 s[48:49], vcc, s[48:49]
	s_andn2_b64 vcc, s[50:51], exec
	s_and_b64 s[50:51], s[52:53], exec
	s_or_b64 s[50:51], vcc, s[50:51]
	s_andn2_b64 exec, exec, s[48:49]
	s_cbranch_execz .LBB8_1096
.LBB8_1092:                             ;   Parent Loop BB8_611 Depth=1
                                        ; =>  This Inner Loop Header: Depth=2
	s_add_i32 s58, s58, 1
	s_cmpk_lg_i32 s58, 0x2710
	s_cselect_b64 s[54:55], -1, 0
	s_and_b64 vcc, exec, s[54:55]
                                        ; implicit-def: $sgpr56_sgpr57
	s_cbranch_vccnz .LBB8_1094
; %bb.1093:                             ;   in Loop: Header=BB8_1092 Depth=2
	s_trap 2
	ds_read_b64 v[0:1], v0
	s_andn2_b64 s[54:55], s[54:55], exec
	s_mov_b32 s58, 0
	s_mov_b64 s[56:57], -1
	s_waitcnt lgkmcnt(0)
	flat_load_dword v0, v[0:1] glc
	s_waitcnt vmcnt(0) lgkmcnt(0)
	buffer_invl2
	buffer_wbinvl1_vol
	v_cmp_eq_u32_e32 vcc, 0, v0
	s_and_b64 vcc, vcc, exec
	s_or_b64 s[54:55], s[54:55], vcc
.LBB8_1094:                             ;   in Loop: Header=BB8_1092 Depth=2
	s_andn2_b64 s[52:53], s[52:53], exec
	s_and_b64 s[56:57], s[56:57], exec
	s_mov_b64 vcc, -1
	s_or_b64 s[52:53], s[52:53], s[56:57]
	s_and_saveexec_b64 s[56:57], s[54:55]
	s_cbranch_execz .LBB8_1091
; %bb.1095:                             ;   in Loop: Header=BB8_1092 Depth=2
	s_sleep 1
	s_trap 2
	ds_read_b64 v[0:1], v0
	v_accvgpr_read_b32 v2, a20
	v_accvgpr_read_b32 v3, a21
	s_andn2_b64 s[52:53], s[52:53], exec
	s_waitcnt lgkmcnt(0)
	v_cmp_ge_u64_e32 vcc, v[0:1], v[2:3]
	s_orn2_b64 vcc, vcc, exec
	s_branch .LBB8_1091
.LBB8_1096:                             ;   in Loop: Header=BB8_611 Depth=1
	s_or_b64 exec, exec, s[48:49]
	s_and_saveexec_b64 vcc, s[50:51]
	s_xor_b64 vcc, exec, vcc
	s_cbranch_execz .LBB8_1098
; %bb.1097:                             ;   in Loop: Header=BB8_611 Depth=1
	v_mov_b32_e32 v0, 1
	ds_write_b32 v0, v0
	s_trap 2
.LBB8_1098:                             ;   in Loop: Header=BB8_611 Depth=1
	s_or_b64 exec, exec, s[46:47]
	;;#ASMSTART
	s_wakeup
	;;#ASMEND
.LBB8_1099:                             ;   in Loop: Header=BB8_611 Depth=1
	s_or_b64 exec, exec, s[44:45]
.LBB8_1100:                             ;   in Loop: Header=BB8_611 Depth=1
	s_andn2_saveexec_b64 s[22:23], s[22:23]
	s_cbranch_execz .LBB8_1102
; %bb.1101:                             ;   in Loop: Header=BB8_611 Depth=1
	s_waitcnt vmcnt(0) lgkmcnt(0)
	buffer_wbinvl1_vol
	s_barrier
.LBB8_1102:                             ;   in Loop: Header=BB8_611 Depth=1
	s_or_b64 exec, exec, s[22:23]
.LBB8_1103:                             ;   in Loop: Header=BB8_611 Depth=1
	s_or_b64 exec, exec, s[20:21]
	v_and_b32_e32 v0, 16, v62
	v_cmp_ne_u32_e32 vcc, 0, v0
	s_and_b64 s[20:21], vcc, s[18:19]
	s_and_saveexec_b64 s[18:19], s[20:21]
	s_cbranch_execz .LBB8_1105
; %bb.1104:                             ;   in Loop: Header=BB8_611 Depth=1
	s_waitcnt vmcnt(0) lgkmcnt(0)
	buffer_wbinvl1_vol
.LBB8_1105:                             ;   in Loop: Header=BB8_611 Depth=1
	s_or_b64 exec, exec, s[18:19]
	v_and_b32_e32 v0, 32, v62
	v_cmp_ne_u32_e32 vcc, 0, v0
	s_and_saveexec_b64 s[18:19], vcc
	s_cbranch_execz .LBB8_1107
; %bb.1106:                             ;   in Loop: Header=BB8_611 Depth=1
	v_accvgpr_read_b32 v0, a12
	v_accvgpr_read_b32 v2, a14
	;; [unrolled: 1-line block ×3, first 2 shown]
	v_add_co_u32_e32 v2, vcc, 1, v2
	v_addc_co_u32_e32 v3, vcc, 0, v3, vcc
	v_accvgpr_read_b32 v1, a13
	v_accvgpr_write_b32 a15, v3
	v_accvgpr_write_b32 a14, v2
	;; [unrolled: 1-line block ×4, first 2 shown]
	flat_store_dwordx2 v[42:43], v[2:3]
.LBB8_1107:                             ;   in Loop: Header=BB8_611 Depth=1
	s_or_b64 exec, exec, s[18:19]
	v_mov_b32_e32 v10, v8
.LBB8_1108:                             ;   in Loop: Header=BB8_611 Depth=1
	s_or_b64 exec, exec, s[42:43]
	s_and_saveexec_b64 s[20:21], s[40:41]
	s_cbranch_execz .LBB8_610
; %bb.1109:                             ;   in Loop: Header=BB8_611 Depth=1
	v_and_b32_e32 v0, 4, v62
	v_cmp_ne_u32_e32 vcc, 0, v0
	s_mov_b64 s[22:23], -1
	s_and_saveexec_b64 s[18:19], vcc
	s_cbranch_execnz .LBB8_1112
; %bb.1110:                             ;   in Loop: Header=BB8_611 Depth=1
	s_or_b64 exec, exec, s[18:19]
	s_xor_b64 s[18:19], s[22:23], -1
	s_and_saveexec_b64 s[22:23], s[18:19]
	s_cbranch_execnz .LBB8_1123
.LBB8_1111:                             ;   in Loop: Header=BB8_611 Depth=1
	s_or_b64 exec, exec, s[22:23]
	s_and_saveexec_b64 s[18:19], s[10:11]
	s_cbranch_execnz .LBB8_1132
	s_branch .LBB8_1150
.LBB8_1112:                             ;   in Loop: Header=BB8_611 Depth=1
	v_accvgpr_read_b32 v0, a12
	v_accvgpr_read_b32 v2, a14
	;; [unrolled: 1-line block ×4, first 2 shown]
	v_add_co_u32_e32 v0, vcc, 1, v2
	v_addc_co_u32_e32 v1, vcc, 0, v3, vcc
	v_cmp_lt_u64_e32 vcc, v[46:47], v[0:1]
	v_mov_b32_e32 v2, 1
	s_and_saveexec_b64 s[22:23], vcc
	s_cbranch_execz .LBB8_1122
; %bb.1113:                             ;   in Loop: Header=BB8_611 Depth=1
	s_mov_b64 s[40:41], 0
	v_mov_b32_e32 v2, 0
                                        ; implicit-def: $sgpr42_sgpr43
	s_branch .LBB8_1117
.LBB8_1114:                             ;   in Loop: Header=BB8_1117 Depth=2
	s_or_b64 exec, exec, s[50:51]
	v_mov_b32_e32 v3, 0
	s_orn2_b64 s[48:49], s[48:49], exec
.LBB8_1115:                             ;   in Loop: Header=BB8_1117 Depth=2
	s_or_b64 exec, exec, s[46:47]
	s_andn2_b64 vcc, s[42:43], exec
	s_and_b64 s[42:43], s[48:49], exec
	s_or_b64 s[42:43], vcc, s[42:43]
	v_mov_b32_e32 v2, v3
.LBB8_1116:                             ;   in Loop: Header=BB8_1117 Depth=2
	s_or_b64 exec, exec, s[44:45]
	s_waitcnt vmcnt(0) lgkmcnt(0)
	v_cmp_ge_u64_e32 vcc, v[46:47], v[0:1]
	s_xor_b64 s[44:45], s[42:43], -1
	s_or_b64 vcc, s[44:45], vcc
	s_and_b64 vcc, exec, vcc
	s_or_b64 s[40:41], vcc, s[40:41]
	s_andn2_b64 exec, exec, s[40:41]
	s_cbranch_execz .LBB8_1121
.LBB8_1117:                             ;   Parent Loop BB8_611 Depth=1
                                        ; =>  This Inner Loop Header: Depth=2
	s_sleep 1
	flat_load_dwordx2 v[46:47], v[42:43] glc
	v_and_b32_e32 v3, 64, v62
	v_cmp_eq_u32_e32 vcc, 0, v3
	s_andn2_b64 s[42:43], s[42:43], exec
	s_and_saveexec_b64 s[44:45], vcc
	s_cbranch_execz .LBB8_1116
; %bb.1118:                             ;   in Loop: Header=BB8_1117 Depth=2
	v_add_u32_e32 v3, 1, v2
	v_cmp_lt_i32_e32 vcc, s63, v2
	s_mov_b64 s[48:49], -1
	s_and_saveexec_b64 s[46:47], vcc
	s_cbranch_execz .LBB8_1115
; %bb.1119:                             ;   in Loop: Header=BB8_1117 Depth=2
	s_trap 2
	ds_read_b64 v[2:3], v0
	s_waitcnt vmcnt(0) lgkmcnt(0)
	flat_load_dword v2, v[2:3] glc
	s_waitcnt vmcnt(0) lgkmcnt(0)
	buffer_invl2
	buffer_wbinvl1_vol
	v_cmp_ne_u32_e32 vcc, 0, v2
	s_and_saveexec_b64 s[50:51], vcc
	s_cbranch_execz .LBB8_1114
; %bb.1120:                             ;   in Loop: Header=BB8_1117 Depth=2
	v_or_b32_e32 v62, 64, v62
	s_xor_b64 s[48:49], exec, -1
	ds_write_b32 v0, v2
	s_trap 2
	s_branch .LBB8_1114
.LBB8_1121:                             ;   in Loop: Header=BB8_611 Depth=1
	s_or_b64 exec, exec, s[40:41]
	v_and_b32_e32 v2, 4, v62
.LBB8_1122:                             ;   in Loop: Header=BB8_611 Depth=1
	s_or_b64 exec, exec, s[22:23]
	v_cmp_eq_u32_e32 vcc, 0, v2
	s_orn2_b64 s[22:23], vcc, exec
	;;#ASMSTART
	s_wakeup
	;;#ASMEND
	s_or_b64 exec, exec, s[18:19]
	s_xor_b64 s[18:19], s[22:23], -1
	s_and_saveexec_b64 s[22:23], s[18:19]
	s_cbranch_execz .LBB8_1111
.LBB8_1123:                             ;   in Loop: Header=BB8_611 Depth=1
	v_and_b32_e32 v0, 0x100, v62
	v_cmp_ne_u32_e32 vcc, 0, v0
	v_accvgpr_read_b32 v0, a12
	v_accvgpr_read_b32 v2, a14
	;; [unrolled: 1-line block ×3, first 2 shown]
	v_and_b32_e32 v4, 7, v2
	s_mov_b64 s[18:19], -1
	v_accvgpr_read_b32 v3, a15
                                        ; implicit-def: $vgpr0_vgpr1
	s_and_saveexec_b64 s[40:41], vcc
	s_cbranch_execz .LBB8_1127
; %bb.1124:                             ;   in Loop: Header=BB8_611 Depth=1
	v_accvgpr_read_b32 v0, a12
	v_accvgpr_read_b32 v1, a13
	;; [unrolled: 1-line block ×4, first 2 shown]
	v_mad_u64_u32 v[2:3], s[18:19], v4, 24, v[0:1]
	flat_load_dword v0, v[2:3]
	s_waitcnt vmcnt(0) lgkmcnt(0)
	v_cmp_ne_u32_e32 vcc, 1, v0
	v_cmp_eq_u32_e64 s[18:19], 1, v0
                                        ; implicit-def: $vgpr0_vgpr1
	s_and_saveexec_b64 s[42:43], s[18:19]
	s_cbranch_execz .LBB8_1126
; %bb.1125:                             ;   in Loop: Header=BB8_611 Depth=1
	flat_load_dword v0, v[2:3] offset:4 glc
	s_waitcnt vmcnt(0) lgkmcnt(0)
	v_ashrrev_i32_e32 v1, 31, v0
	v_lshrrev_b64 v[0:1], 1, v[0:1]
.LBB8_1126:                             ;   in Loop: Header=BB8_611 Depth=1
	s_or_b64 exec, exec, s[42:43]
	s_orn2_b64 s[18:19], vcc, exec
.LBB8_1127:                             ;   in Loop: Header=BB8_611 Depth=1
	s_or_b64 exec, exec, s[40:41]
	s_and_saveexec_b64 vcc, s[18:19]
; %bb.1128:                             ;   in Loop: Header=BB8_611 Depth=1
	v_accvgpr_read_b32 v0, a16
	v_mad_i64_i32 v[0:1], s[18:19], v4, v0, 0
; %bb.1129:                             ;   in Loop: Header=BB8_611 Depth=1
	s_or_b64 exec, exec, vcc
	v_lshlrev_b64 v[0:1], 1, v[0:1]
	v_accvgpr_read_b32 v2, a18
	v_accvgpr_read_b32 v3, a19
	v_add_co_u32_e32 v0, vcc, v2, v0
	v_addc_co_u32_e32 v1, vcc, v3, v1, vcc
	ds_write_b64 v0, v[0:1] offset:728
	v_and_b32_e32 v0, 0x2000, v62
	v_cmp_ne_u32_e32 vcc, 0, v0
	s_and_saveexec_b64 s[18:19], vcc
	s_cbranch_execz .LBB8_1131
; %bb.1130:                             ;   in Loop: Header=BB8_611 Depth=1
	ds_read_b64 v[0:1], v0 offset:584
	s_waitcnt lgkmcnt(0)
	v_add_co_u32_e32 v0, vcc, 1, v0
	v_addc_co_u32_e32 v1, vcc, 0, v1, vcc
	ds_write_b64 v0, v[0:1] offset:584
.LBB8_1131:                             ;   in Loop: Header=BB8_611 Depth=1
	s_or_b64 exec, exec, s[18:19]
	v_accvgpr_read_b32 v0, a12
	v_accvgpr_read_b32 v2, a14
	;; [unrolled: 1-line block ×3, first 2 shown]
	v_add_co_u32_e32 v2, vcc, 1, v2
	v_addc_co_u32_e32 v3, vcc, 0, v3, vcc
	v_accvgpr_read_b32 v1, a13
	v_accvgpr_write_b32 a15, v3
	v_accvgpr_write_b32 a14, v2
	;; [unrolled: 1-line block ×4, first 2 shown]
	s_or_b64 exec, exec, s[22:23]
	s_and_saveexec_b64 s[18:19], s[10:11]
	s_cbranch_execz .LBB8_1150
.LBB8_1132:                             ;   in Loop: Header=BB8_611 Depth=1
	s_and_saveexec_b64 s[22:23], s[34:35]
	s_xor_b64 s[22:23], exec, s[22:23]
	s_cbranch_execz .LBB8_1147
; %bb.1133:                             ;   in Loop: Header=BB8_611 Depth=1
	s_and_saveexec_b64 s[40:41], s[12:13]
	s_cbranch_execz .LBB8_1146
; %bb.1134:                             ;   in Loop: Header=BB8_611 Depth=1
	s_mov_b64 s[44:45], exec
	v_mbcnt_lo_u32_b32 v0, s44, 0
	v_mbcnt_hi_u32_b32 v0, s45, v0
	v_cmp_eq_u32_e32 vcc, 0, v0
	s_waitcnt vmcnt(0) lgkmcnt(0)
	buffer_wbinvl1_vol
	s_and_saveexec_b64 s[42:43], vcc
	s_cbranch_execz .LBB8_1136
; %bb.1135:                             ;   in Loop: Header=BB8_611 Depth=1
	s_bcnt1_i32_b64 vcc_lo, s[44:45]
	v_mov_b32_e32 v52, vcc_lo
	ds_add_u64 v0, v[52:53]
	v_accvgpr_read_b32 v52, a39
	s_trap 2
.LBB8_1136:                             ;   in Loop: Header=BB8_611 Depth=1
	s_or_b64 exec, exec, s[42:43]
	s_trap 2
	ds_read_b64 v[0:1], v0
	v_accvgpr_read_b32 v2, a20
	v_accvgpr_read_b32 v3, a21
	v_add_co_u32_e32 v2, vcc, v2, v30
	v_addc_co_u32_e32 v3, vcc, 0, v3, vcc
	v_accvgpr_write_b32 a21, v3
	v_accvgpr_write_b32 a20, v2
	s_waitcnt lgkmcnt(0)
	v_cmp_lt_u64_e32 vcc, v[0:1], v[2:3]
	s_and_saveexec_b64 s[42:43], vcc
	s_cbranch_execz .LBB8_1145
; %bb.1137:                             ;   in Loop: Header=BB8_611 Depth=1
	s_mov_b32 s54, 0
	s_mov_b64 s[44:45], 0
                                        ; implicit-def: $sgpr46_sgpr47
                                        ; implicit-def: $sgpr48_sgpr49
	s_branch .LBB8_1139
.LBB8_1138:                             ;   in Loop: Header=BB8_1139 Depth=2
	s_or_b64 exec, exec, s[52:53]
	s_and_b64 vcc, exec, vcc
	s_or_b64 s[44:45], vcc, s[44:45]
	s_andn2_b64 vcc, s[46:47], exec
	s_and_b64 s[46:47], s[48:49], exec
	s_or_b64 s[46:47], vcc, s[46:47]
	s_andn2_b64 exec, exec, s[44:45]
	s_cbranch_execz .LBB8_1143
.LBB8_1139:                             ;   Parent Loop BB8_611 Depth=1
                                        ; =>  This Inner Loop Header: Depth=2
	s_add_i32 s54, s54, 1
	s_cmpk_lg_i32 s54, 0x2710
	s_cselect_b64 s[50:51], -1, 0
	s_and_b64 vcc, exec, s[50:51]
                                        ; implicit-def: $sgpr52_sgpr53
	s_cbranch_vccnz .LBB8_1141
; %bb.1140:                             ;   in Loop: Header=BB8_1139 Depth=2
	s_trap 2
	ds_read_b64 v[0:1], v0
	s_andn2_b64 s[50:51], s[50:51], exec
	s_mov_b32 s54, 0
	s_mov_b64 s[52:53], -1
	s_waitcnt lgkmcnt(0)
	flat_load_dword v0, v[0:1] glc
	s_waitcnt vmcnt(0) lgkmcnt(0)
	buffer_invl2
	buffer_wbinvl1_vol
	v_cmp_eq_u32_e32 vcc, 0, v0
	s_and_b64 vcc, vcc, exec
	s_or_b64 s[50:51], s[50:51], vcc
.LBB8_1141:                             ;   in Loop: Header=BB8_1139 Depth=2
	s_andn2_b64 s[48:49], s[48:49], exec
	s_and_b64 s[52:53], s[52:53], exec
	s_mov_b64 vcc, -1
	s_or_b64 s[48:49], s[48:49], s[52:53]
	s_and_saveexec_b64 s[52:53], s[50:51]
	s_cbranch_execz .LBB8_1138
; %bb.1142:                             ;   in Loop: Header=BB8_1139 Depth=2
	s_sleep 1
	s_trap 2
	ds_read_b64 v[0:1], v0
	v_accvgpr_read_b32 v2, a20
	v_accvgpr_read_b32 v3, a21
	s_andn2_b64 s[48:49], s[48:49], exec
	s_waitcnt lgkmcnt(0)
	v_cmp_ge_u64_e32 vcc, v[0:1], v[2:3]
	s_orn2_b64 vcc, vcc, exec
	s_branch .LBB8_1138
.LBB8_1143:                             ;   in Loop: Header=BB8_611 Depth=1
	s_or_b64 exec, exec, s[44:45]
	s_and_saveexec_b64 vcc, s[46:47]
	s_xor_b64 vcc, exec, vcc
	s_cbranch_execz .LBB8_1145
; %bb.1144:                             ;   in Loop: Header=BB8_611 Depth=1
	v_mov_b32_e32 v0, 1
	ds_write_b32 v0, v0
	s_trap 2
.LBB8_1145:                             ;   in Loop: Header=BB8_611 Depth=1
	s_or_b64 exec, exec, s[42:43]
	;;#ASMSTART
	s_wakeup
	;;#ASMEND
.LBB8_1146:                             ;   in Loop: Header=BB8_611 Depth=1
	s_or_b64 exec, exec, s[40:41]
.LBB8_1147:                             ;   in Loop: Header=BB8_611 Depth=1
	s_andn2_saveexec_b64 s[22:23], s[22:23]
	s_cbranch_execz .LBB8_1149
; %bb.1148:                             ;   in Loop: Header=BB8_611 Depth=1
	s_waitcnt vmcnt(0) lgkmcnt(0)
	buffer_wbinvl1_vol
	s_barrier
.LBB8_1149:                             ;   in Loop: Header=BB8_611 Depth=1
	s_or_b64 exec, exec, s[22:23]
.LBB8_1150:                             ;   in Loop: Header=BB8_611 Depth=1
	s_or_b64 exec, exec, s[18:19]
	s_trap 2
	ds_read_b32 v0, v0
	v_accvgpr_read_b32 v2, a46
	v_sub_u32_e32 v1, v2, v10
	v_min_i32_e32 v1, v8, v1
	v_cmp_lt_i32_e32 vcc, 0, v1
	s_waitcnt lgkmcnt(0)
	v_readfirstlane_b32 s18, v0
	s_cmp_eq_u32 s18, 0
	s_cselect_b64 s[18:19], -1, 0
	v_and_b32_e32 v0, 16, v62
	s_and_b64 s[18:19], vcc, s[18:19]
	v_cmp_ne_u32_e32 vcc, 0, v0
	s_and_b64 s[22:23], vcc, s[18:19]
	s_and_saveexec_b64 s[18:19], s[22:23]
	s_cbranch_execz .LBB8_1152
; %bb.1151:                             ;   in Loop: Header=BB8_611 Depth=1
	s_waitcnt vmcnt(0)
	buffer_wbinvl1_vol
.LBB8_1152:                             ;   in Loop: Header=BB8_611 Depth=1
	s_or_b64 exec, exec, s[18:19]
	v_and_b32_e32 v0, 32, v62
	v_cmp_ne_u32_e32 vcc, 0, v0
	s_and_saveexec_b64 s[18:19], vcc
	s_cbranch_execz .LBB8_609
; %bb.1153:                             ;   in Loop: Header=BB8_611 Depth=1
	v_accvgpr_read_b32 v0, a12
	v_accvgpr_read_b32 v2, a14
	;; [unrolled: 1-line block ×3, first 2 shown]
	v_add_co_u32_e32 v2, vcc, 1, v2
	v_addc_co_u32_e32 v3, vcc, 0, v3, vcc
	v_accvgpr_read_b32 v1, a13
	v_accvgpr_write_b32 a15, v3
	v_accvgpr_write_b32 a14, v2
	;; [unrolled: 1-line block ×4, first 2 shown]
	flat_store_dwordx2 v[42:43], v[2:3]
	s_branch .LBB8_609
.LBB8_1154:
	s_or_b64 exec, exec, s[36:37]
	v_accvgpr_read_b32 v25, a11
	v_accvgpr_read_b32 v29, a15
	;; [unrolled: 1-line block ×9, first 2 shown]
.LBB8_1155:
	s_or_b64 exec, exec, s[26:27]
.LBB8_1156:
	s_or_b64 exec, exec, s[24:25]
                                        ; implicit-def: $agpr6_agpr7
                                        ; implicit-def: $vgpr22_vgpr23
                                        ; implicit-def: $agpr24_agpr25
                                        ; implicit-def: $agpr16
                                        ; implicit-def: $vgpr46_vgpr47
                                        ; implicit-def: $agpr18_agpr19
                                        ; implicit-def: $vgpr42_vgpr43
                                        ; implicit-def: $vgpr0
                                        ; implicit-def: $vgpr5
                                        ; implicit-def: $vgpr34_vgpr35
.LBB8_1157:
	s_andn2_saveexec_b64 s[22:23], s[30:31]
	s_cbranch_execz .LBB8_1359
; %bb.1158:
	v_pk_mov_b32 v[2:3], 0, 0
	v_accvgpr_write_b32 a21, v3
	s_mov_b64 s[26:27], 0
	v_cmp_ne_u64_e32 vcc, 0, v[22:23]
	v_accvgpr_write_b32 a20, v2
	s_and_saveexec_b64 s[24:25], vcc
	s_cbranch_execz .LBB8_1358
; %bb.1159:
	v_ashrrev_i32_e32 v3, 31, v0
	v_lshrrev_b32_e32 v3, 26, v3
	v_add_u32_e32 v3, v0, v3
	v_and_b32_e32 v4, 0xffffffc0, v3
	s_lshr_b32 s6, s64, 27
	v_sub_u32_e32 v4, v0, v4
	s_add_i32 s64, s64, s6
	v_cmp_ge_i32_e64 s[6:7], v0, v1
	v_and_b32_e32 v2, 63, v31
	v_cmp_lt_i32_e64 s[16:17], v4, v5
	v_ashrrev_i32_e32 v5, 6, v3
	v_lshlrev_b32_e32 v0, 4, v4
	s_waitcnt vmcnt(0) lgkmcnt(0)
	v_accvgpr_write_b32 a12, v26
	v_cmp_eq_u32_e64 s[12:13], 0, v2
	v_lshrrev_b32_e32 v2, 6, v1
	v_lshl_add_u32 v58, v5, 11, v0
	v_mov_b32_e32 v0, 0xfffff800
	v_accvgpr_write_b32 a13, v27
	v_accvgpr_write_b32 a14, v28
	v_accvgpr_write_b32 a15, v29
	v_lshl_add_u32 v28, v2, 11, v0
	s_movk_i32 s18, 0x800
	v_ashrrev_i32_e32 v29, 31, v28
	v_add_co_u32_e64 v27, s[18:19], s18, v28
	v_lshlrev_b32_e32 v55, 10, v2
	v_addc_co_u32_e64 v54, s[18:19], 0, v29, s[18:19]
	v_add_u32_e32 v30, 0xfffffc00, v55
	s_movk_i32 s59, 0x400
	v_lshlrev_b32_e32 v56, 7, v2
	v_accvgpr_write_b32 a1, v31
	v_ashrrev_i32_e32 v31, 31, v30
	v_add_co_u32_e64 v44, s[18:19], s59, v30
	v_accvgpr_read_b32 v6, a24
	v_add_u32_e32 v32, 0xffffff80, v56
	s_movk_i32 s20, 0x80
	v_pk_mov_b32 v[8:9], v[34:35], v[34:35] op_sel:[0,1]
	v_pk_mov_b32 v[34:35], 0, 0
	v_accvgpr_write_b32 a10, v24
	v_cmp_eq_u32_e32 vcc, 64, v1
	v_addc_co_u32_e64 v45, s[18:19], 0, v31, s[18:19]
	v_accvgpr_read_b32 v7, a25
	v_ashrrev_i32_e32 v33, 31, v32
	v_add_co_u32_e64 v57, s[20:21], s20, v32
	v_accvgpr_write_b32 a20, v34
	v_accvgpr_write_b32 a11, v25
	s_ashr_i32 s58, s64, 5
	v_cmp_ne_u32_e64 s[10:11], 64, v1
	v_accvgpr_write_b32 a2, v19
	v_cmp_ne_u32_sdwa s[30:31], v19, v1 src0_sel:WORD_0 src1_sel:DWORD
	v_accvgpr_write_b32 a0, v1
	v_mov_b32_e32 v1, 0
	v_cmp_gt_i32_e64 s[14:15], 1, v4
	v_ashrrev_i32_e32 v59, 31, v58
	v_cmp_ne_u64_e64 s[18:19], 0, v[6:7]
	v_addc_co_u32_e64 v60, s[20:21], 0, v33, s[20:21]
	s_movk_i32 s60, 0x270e
	v_mov_b32_e32 v61, 1
	s_xor_b64 s[34:35], vcc, -1
	v_accvgpr_write_b32 a21, v35
	s_trap 2
	s_branch .LBB8_1163
.LBB8_1160:                             ;   in Loop: Header=BB8_1163 Depth=1
	s_or_b64 exec, exec, vcc
	v_accvgpr_read_b32 v6, a12
	v_accvgpr_read_b32 v8, a14
	;; [unrolled: 1-line block ×3, first 2 shown]
	v_add_co_u32_e32 v8, vcc, 1, v8
	v_addc_co_u32_e32 v9, vcc, 0, v9, vcc
	v_accvgpr_read_b32 v7, a13
	v_accvgpr_write_b32 a15, v9
	v_accvgpr_write_b32 a14, v8
	;; [unrolled: 1-line block ×4, first 2 shown]
	flat_store_dwordx2 v[42:43], v[8:9]
.LBB8_1161:                             ;   in Loop: Header=BB8_1163 Depth=1
	s_or_b64 exec, exec, s[20:21]
.LBB8_1162:                             ;   in Loop: Header=BB8_1163 Depth=1
	s_or_b64 exec, exec, s[38:39]
	v_accvgpr_read_b32 v8, a22
	v_add_co_u32_e32 v34, vcc, v34, v8
	v_accvgpr_read_b32 v23, a5
	v_addc_co_u32_e32 v35, vcc, 0, v35, vcc
	v_accvgpr_read_b32 v22, a4
	v_cmp_ge_u64_e32 vcc, v[34:35], v[22:23]
	v_accvgpr_read_b32 v9, a23
	s_or_b64 s[26:27], vcc, s[26:27]
	s_andn2_b64 exec, exec, s[26:27]
	s_cbranch_execz .LBB8_1357
.LBB8_1163:                             ; =>This Loop Header: Depth=1
                                        ;     Child Loop BB8_1172 Depth 2
                                        ;     Child Loop BB8_1196 Depth 2
	;; [unrolled: 1-line block ×10, first 2 shown]
	v_sub_co_u32_e32 v6, vcc, v22, v34
	v_subb_co_u32_e32 v7, vcc, v23, v35, vcc
	v_cmp_lt_u64_e32 vcc, v[8:9], v[6:7]
	v_cndmask_b32_e64 v37, v7, 0, vcc
	v_cndmask_b32_e32 v36, v6, v8, vcc
	v_add_u32_e32 v0, 15, v36
	v_cmp_eq_u64_e32 vcc, 0, v[36:37]
	v_accvgpr_write_b32 a4, v22
	v_accvgpr_write_b32 a23, v9
	v_and_b32_e32 v0, 0x3ffffff0, v0
	s_or_b64 s[36:37], s[6:7], vcc
	v_accvgpr_write_b32 a5, v23
	v_accvgpr_write_b32 a22, v8
	v_max_i32_e32 v3, s58, v0
	s_xor_b64 s[20:21], s[36:37], -1
	v_mov_b32_e32 v0, 0
	s_and_saveexec_b64 s[38:39], s[20:21]
	s_cbranch_execz .LBB8_1310
; %bb.1164:                             ;   in Loop: Header=BB8_1163 Depth=1
	s_and_saveexec_b64 s[20:21], s[4:5]
	s_cbranch_execz .LBB8_1166
; %bb.1165:                             ;   in Loop: Header=BB8_1163 Depth=1
	s_trap 2
	ds_read_b64 v[6:7], v0
	v_accvgpr_read_b32 v9, a7
	v_accvgpr_read_b32 v8, a6
	v_lshlrev_b64 v[8:9], 1, v[8:9]
	s_waitcnt lgkmcnt(0)
	v_add_co_u32_e32 v0, vcc, v6, v8
	v_addc_co_u32_e32 v8, vcc, v7, v9, vcc
	v_lshlrev_b64 v[6:7], 1, v[34:35]
	v_add_co_u32_e32 v6, vcc, v0, v6
	v_addc_co_u32_e32 v7, vcc, v8, v7, vcc
	ds_write_b64 v0, v[6:7]
	v_mov_b32_e32 v0, v1
	ds_write_b64 v0, v[0:1]
.LBB8_1166:                             ;   in Loop: Header=BB8_1163 Depth=1
	s_or_b64 exec, exec, s[20:21]
	v_and_b32_e32 v0, 8, v62
	v_cmp_ne_u32_e32 vcc, 0, v0
	s_mov_b64 s[40:41], -1
	s_and_saveexec_b64 s[20:21], vcc
	s_cbranch_execz .LBB8_1178
; %bb.1167:                             ;   in Loop: Header=BB8_1163 Depth=1
	v_add_co_u32_e32 v6, vcc, 8, v46
	v_accvgpr_read_b32 v8, a12
	v_addc_co_u32_e32 v7, vcc, 0, v47, vcc
	v_accvgpr_read_b32 v10, a14
	v_accvgpr_read_b32 v11, a15
	v_add_co_u32_e32 v10, vcc, 1, v10
	v_addc_co_u32_e32 v11, vcc, 0, v11, vcc
	v_cmp_lt_u64_e32 vcc, v[6:7], v[10:11]
	v_mov_b32_e32 v0, 1
	v_accvgpr_read_b32 v9, a13
	s_and_saveexec_b64 s[40:41], vcc
	s_cbranch_execz .LBB8_1177
; %bb.1168:                             ;   in Loop: Header=BB8_1163 Depth=1
	s_mov_b64 s[42:43], 0
	v_mov_b32_e32 v0, 0
                                        ; implicit-def: $sgpr44_sgpr45
	s_branch .LBB8_1172
.LBB8_1169:                             ;   in Loop: Header=BB8_1172 Depth=2
	s_or_b64 exec, exec, s[52:53]
	v_mov_b32_e32 v6, 0
	s_orn2_b64 s[50:51], s[50:51], exec
.LBB8_1170:                             ;   in Loop: Header=BB8_1172 Depth=2
	s_or_b64 exec, exec, s[48:49]
	s_andn2_b64 vcc, s[44:45], exec
	s_and_b64 s[44:45], s[50:51], exec
	s_or_b64 s[44:45], vcc, s[44:45]
	v_mov_b32_e32 v0, v6
.LBB8_1171:                             ;   in Loop: Header=BB8_1172 Depth=2
	s_or_b64 exec, exec, s[46:47]
	s_waitcnt vmcnt(0) lgkmcnt(0)
	v_add_co_u32_e32 v6, vcc, 8, v46
	v_addc_co_u32_e32 v7, vcc, 0, v47, vcc
	v_cmp_ge_u64_e32 vcc, v[6:7], v[10:11]
	s_xor_b64 s[46:47], s[44:45], -1
	s_or_b64 vcc, s[46:47], vcc
	s_and_b64 vcc, exec, vcc
	s_or_b64 s[42:43], vcc, s[42:43]
	s_andn2_b64 exec, exec, s[42:43]
	s_cbranch_execz .LBB8_1176
.LBB8_1172:                             ;   Parent Loop BB8_1163 Depth=1
                                        ; =>  This Inner Loop Header: Depth=2
	s_sleep 1
	flat_load_dwordx2 v[46:47], v[42:43] glc
	v_and_b32_e32 v6, 64, v62
	v_cmp_eq_u32_e32 vcc, 0, v6
	s_andn2_b64 s[44:45], s[44:45], exec
	s_and_saveexec_b64 s[46:47], vcc
	s_cbranch_execz .LBB8_1171
; %bb.1173:                             ;   in Loop: Header=BB8_1172 Depth=2
	v_add_u32_e32 v6, 1, v0
	v_cmp_lt_i32_e32 vcc, s60, v0
	s_mov_b64 s[50:51], -1
	s_and_saveexec_b64 s[48:49], vcc
	s_cbranch_execz .LBB8_1170
; %bb.1174:                             ;   in Loop: Header=BB8_1172 Depth=2
	s_trap 2
	ds_read_b64 v[6:7], v0
	s_waitcnt vmcnt(0) lgkmcnt(0)
	flat_load_dword v0, v[6:7] glc
	s_waitcnt vmcnt(0) lgkmcnt(0)
	buffer_invl2
	buffer_wbinvl1_vol
	v_cmp_ne_u32_e32 vcc, 0, v0
	s_and_saveexec_b64 s[52:53], vcc
	s_cbranch_execz .LBB8_1169
; %bb.1175:                             ;   in Loop: Header=BB8_1172 Depth=2
	v_or_b32_e32 v62, 64, v62
	s_xor_b64 s[50:51], exec, -1
	ds_write_b32 v0, v0
	s_trap 2
	s_branch .LBB8_1169
.LBB8_1176:                             ;   in Loop: Header=BB8_1163 Depth=1
	s_or_b64 exec, exec, s[42:43]
	v_and_b32_e32 v0, 8, v62
.LBB8_1177:                             ;   in Loop: Header=BB8_1163 Depth=1
	s_or_b64 exec, exec, s[40:41]
	v_cmp_eq_u32_e32 vcc, 0, v0
	s_orn2_b64 s[40:41], vcc, exec
	;;#ASMSTART
	s_wakeup
	;;#ASMEND
.LBB8_1178:                             ;   in Loop: Header=BB8_1163 Depth=1
	s_or_b64 exec, exec, s[20:21]
	s_xor_b64 s[20:21], s[40:41], -1
	v_min_u32_e32 v3, v3, v36
	s_and_saveexec_b64 s[40:41], s[20:21]
	s_cbranch_execz .LBB8_1188
; %bb.1179:                             ;   in Loop: Header=BB8_1163 Depth=1
	v_accvgpr_read_b32 v6, a12
	v_and_b32_e32 v0, 0x100, v62
	v_accvgpr_read_b32 v8, a14
	v_cmp_ne_u32_e32 vcc, 0, v0
	v_and_b32_e32 v6, 7, v8
	s_mov_b64 s[20:21], -1
	v_accvgpr_read_b32 v7, a13
	v_accvgpr_read_b32 v9, a15
                                        ; implicit-def: $vgpr10_vgpr11
	s_and_saveexec_b64 s[42:43], vcc
	s_cbranch_execz .LBB8_1183
; %bb.1180:                             ;   in Loop: Header=BB8_1163 Depth=1
	v_accvgpr_read_b32 v8, a12
	v_accvgpr_read_b32 v9, a13
	v_mad_u64_u32 v[12:13], s[20:21], v6, 24, v[8:9]
	flat_load_dword v7, v[12:13]
	v_accvgpr_read_b32 v10, a14
	v_accvgpr_read_b32 v11, a15
	v_lshlrev_b32_e32 v0, 1, v3
	flat_store_dwordx2 v[12:13], v[0:1] offset:8
                                        ; implicit-def: $vgpr10_vgpr11
	s_waitcnt vmcnt(0) lgkmcnt(0)
	v_cmp_ne_u32_e32 vcc, 1, v7
	v_cmp_eq_u32_e64 s[20:21], 1, v7
	s_and_saveexec_b64 s[44:45], s[20:21]
	s_cbranch_execz .LBB8_1182
; %bb.1181:                             ;   in Loop: Header=BB8_1163 Depth=1
	flat_load_dword v8, v[12:13] offset:4 glc
	s_waitcnt vmcnt(0) lgkmcnt(0)
	v_ashrrev_i32_e32 v9, 31, v8
	v_lshrrev_b64 v[10:11], 1, v[8:9]
.LBB8_1182:                             ;   in Loop: Header=BB8_1163 Depth=1
	s_or_b64 exec, exec, s[44:45]
	s_orn2_b64 s[20:21], vcc, exec
.LBB8_1183:                             ;   in Loop: Header=BB8_1163 Depth=1
	s_or_b64 exec, exec, s[42:43]
	s_and_saveexec_b64 vcc, s[20:21]
; %bb.1184:                             ;   in Loop: Header=BB8_1163 Depth=1
	v_accvgpr_read_b32 v0, a16
	v_mad_i64_i32 v[10:11], s[20:21], v6, v0, 0
; %bb.1185:                             ;   in Loop: Header=BB8_1163 Depth=1
	s_or_b64 exec, exec, vcc
	v_lshlrev_b64 v[6:7], 1, v[10:11]
	v_accvgpr_read_b32 v8, a18
	v_accvgpr_read_b32 v9, a19
	v_add_co_u32_e32 v6, vcc, v8, v6
	v_addc_co_u32_e32 v7, vcc, v9, v7, vcc
	ds_write_b64 v0, v[6:7] offset:784
	v_and_b32_e32 v0, 0x2000, v62
	v_cmp_ne_u32_e32 vcc, 0, v0
	s_and_saveexec_b64 s[20:21], vcc
	s_cbranch_execz .LBB8_1187
; %bb.1186:                             ;   in Loop: Header=BB8_1163 Depth=1
	ds_read_b64 v[6:7], v0 offset:584
	s_waitcnt lgkmcnt(0)
	v_add_co_u32_e32 v6, vcc, 1, v6
	v_addc_co_u32_e32 v7, vcc, 0, v7, vcc
	ds_write_b64 v0, v[6:7] offset:584
.LBB8_1187:                             ;   in Loop: Header=BB8_1163 Depth=1
	s_or_b64 exec, exec, s[20:21]
	v_accvgpr_read_b32 v6, a12
	v_accvgpr_read_b32 v8, a14
	v_accvgpr_read_b32 v9, a15
	v_add_co_u32_e32 v8, vcc, 1, v8
	v_addc_co_u32_e32 v9, vcc, 0, v9, vcc
	v_accvgpr_read_b32 v7, a13
	v_accvgpr_write_b32 a15, v9
	v_accvgpr_write_b32 a14, v8
	v_accvgpr_write_b32 a13, v7
	v_accvgpr_write_b32 a12, v6
.LBB8_1188:                             ;   in Loop: Header=BB8_1163 Depth=1
	s_or_b64 exec, exec, s[40:41]
	s_and_saveexec_b64 s[20:21], s[10:11]
	s_cbranch_execz .LBB8_1207
; %bb.1189:                             ;   in Loop: Header=BB8_1163 Depth=1
	s_and_saveexec_b64 vcc, s[30:31]
	s_xor_b64 s[40:41], exec, vcc
	s_cbranch_execz .LBB8_1204
; %bb.1190:                             ;   in Loop: Header=BB8_1163 Depth=1
	s_and_saveexec_b64 s[42:43], s[12:13]
	s_cbranch_execz .LBB8_1203
; %bb.1191:                             ;   in Loop: Header=BB8_1163 Depth=1
	s_mov_b64 s[46:47], exec
	v_mbcnt_lo_u32_b32 v0, s46, 0
	v_mbcnt_hi_u32_b32 v0, s47, v0
	v_cmp_eq_u32_e32 vcc, 0, v0
	s_waitcnt vmcnt(0) lgkmcnt(0)
	buffer_wbinvl1_vol
	s_and_saveexec_b64 s[44:45], vcc
	s_cbranch_execz .LBB8_1193
; %bb.1192:                             ;   in Loop: Header=BB8_1163 Depth=1
	s_bcnt1_i32_b64 vcc_lo, s[46:47]
	v_mov_b32_e32 v0, vcc_lo
	ds_add_u64 v0, v[0:1]
	s_trap 2
.LBB8_1193:                             ;   in Loop: Header=BB8_1163 Depth=1
	s_or_b64 exec, exec, s[44:45]
	s_trap 2
	ds_read_b64 v[6:7], v0
	v_accvgpr_read_b32 v8, a20
	v_accvgpr_read_b32 v9, a21
	v_add_co_u32_e32 v8, vcc, v8, v2
	v_addc_co_u32_e32 v9, vcc, 0, v9, vcc
	v_accvgpr_write_b32 a21, v9
	v_accvgpr_write_b32 a20, v8
	s_waitcnt lgkmcnt(0)
	v_cmp_lt_u64_e32 vcc, v[6:7], v[8:9]
	s_and_saveexec_b64 s[44:45], vcc
	s_cbranch_execz .LBB8_1202
; %bb.1194:                             ;   in Loop: Header=BB8_1163 Depth=1
	s_mov_b32 s56, 0
	s_mov_b64 s[46:47], 0
                                        ; implicit-def: $sgpr48_sgpr49
                                        ; implicit-def: $sgpr50_sgpr51
	s_branch .LBB8_1196
.LBB8_1195:                             ;   in Loop: Header=BB8_1196 Depth=2
	s_or_b64 exec, exec, s[54:55]
	s_and_b64 vcc, exec, vcc
	s_or_b64 s[46:47], vcc, s[46:47]
	s_andn2_b64 vcc, s[48:49], exec
	s_and_b64 s[48:49], s[50:51], exec
	s_or_b64 s[48:49], vcc, s[48:49]
	s_andn2_b64 exec, exec, s[46:47]
	s_cbranch_execz .LBB8_1200
.LBB8_1196:                             ;   Parent Loop BB8_1163 Depth=1
                                        ; =>  This Inner Loop Header: Depth=2
	s_add_i32 s56, s56, 1
	s_cmpk_lg_i32 s56, 0x2710
	s_cselect_b64 s[52:53], -1, 0
	s_and_b64 vcc, exec, s[52:53]
                                        ; implicit-def: $sgpr54_sgpr55
	s_cbranch_vccnz .LBB8_1198
; %bb.1197:                             ;   in Loop: Header=BB8_1196 Depth=2
	s_trap 2
	ds_read_b64 v[6:7], v0
	s_andn2_b64 s[52:53], s[52:53], exec
	s_mov_b32 s56, 0
	s_mov_b64 s[54:55], -1
	s_waitcnt lgkmcnt(0)
	flat_load_dword v0, v[6:7] glc
	s_waitcnt vmcnt(0) lgkmcnt(0)
	buffer_invl2
	buffer_wbinvl1_vol
	v_cmp_eq_u32_e32 vcc, 0, v0
	s_and_b64 vcc, vcc, exec
	s_or_b64 s[52:53], s[52:53], vcc
.LBB8_1198:                             ;   in Loop: Header=BB8_1196 Depth=2
	s_andn2_b64 s[50:51], s[50:51], exec
	s_and_b64 s[54:55], s[54:55], exec
	s_mov_b64 vcc, -1
	s_or_b64 s[50:51], s[50:51], s[54:55]
	s_and_saveexec_b64 s[54:55], s[52:53]
	s_cbranch_execz .LBB8_1195
; %bb.1199:                             ;   in Loop: Header=BB8_1196 Depth=2
	s_sleep 1
	s_trap 2
	ds_read_b64 v[6:7], v0
	v_accvgpr_read_b32 v8, a20
	v_accvgpr_read_b32 v9, a21
	s_andn2_b64 s[50:51], s[50:51], exec
	s_waitcnt lgkmcnt(0)
	v_cmp_ge_u64_e32 vcc, v[6:7], v[8:9]
	s_orn2_b64 vcc, vcc, exec
	s_branch .LBB8_1195
.LBB8_1200:                             ;   in Loop: Header=BB8_1163 Depth=1
	s_or_b64 exec, exec, s[46:47]
	s_and_saveexec_b64 vcc, s[48:49]
	s_xor_b64 vcc, exec, vcc
	s_cbranch_execz .LBB8_1202
; %bb.1201:                             ;   in Loop: Header=BB8_1163 Depth=1
	ds_write_b32 v0, v61
	s_trap 2
.LBB8_1202:                             ;   in Loop: Header=BB8_1163 Depth=1
	s_or_b64 exec, exec, s[44:45]
	;;#ASMSTART
	s_wakeup
	;;#ASMEND
.LBB8_1203:                             ;   in Loop: Header=BB8_1163 Depth=1
	s_or_b64 exec, exec, s[42:43]
.LBB8_1204:                             ;   in Loop: Header=BB8_1163 Depth=1
	s_andn2_saveexec_b64 vcc, s[40:41]
	s_cbranch_execz .LBB8_1206
; %bb.1205:                             ;   in Loop: Header=BB8_1163 Depth=1
	s_waitcnt vmcnt(0) lgkmcnt(0)
	buffer_wbinvl1_vol
	s_barrier
.LBB8_1206:                             ;   in Loop: Header=BB8_1163 Depth=1
	s_or_b64 exec, exec, vcc
.LBB8_1207:                             ;   in Loop: Header=BB8_1163 Depth=1
	s_or_b64 exec, exec, s[20:21]
	s_trap 2
	ds_read_b32 v10, v0
	v_and_b32_e32 v0, 0x4000, v62
	v_cmp_ne_u32_e32 vcc, 0, v0
	s_and_b64 vcc, s[34:35], vcc
	s_and_saveexec_b64 s[20:21], vcc
	s_cbranch_execz .LBB8_1226
; %bb.1208:                             ;   in Loop: Header=BB8_1163 Depth=1
	s_and_saveexec_b64 vcc, s[30:31]
	s_xor_b64 s[40:41], exec, vcc
	s_cbranch_execz .LBB8_1223
; %bb.1209:                             ;   in Loop: Header=BB8_1163 Depth=1
	s_and_saveexec_b64 s[42:43], s[12:13]
	s_cbranch_execz .LBB8_1222
; %bb.1210:                             ;   in Loop: Header=BB8_1163 Depth=1
	s_mov_b64 s[46:47], exec
	v_mbcnt_lo_u32_b32 v0, s46, 0
	v_mbcnt_hi_u32_b32 v0, s47, v0
	v_cmp_eq_u32_e32 vcc, 0, v0
	s_waitcnt vmcnt(0) lgkmcnt(0)
	buffer_wbinvl1_vol
	s_and_saveexec_b64 s[44:45], vcc
	s_cbranch_execz .LBB8_1212
; %bb.1211:                             ;   in Loop: Header=BB8_1163 Depth=1
	s_bcnt1_i32_b64 vcc_lo, s[46:47]
	v_mov_b32_e32 v0, vcc_lo
	ds_add_u64 v0, v[0:1]
	s_trap 2
.LBB8_1212:                             ;   in Loop: Header=BB8_1163 Depth=1
	s_or_b64 exec, exec, s[44:45]
	s_trap 2
	ds_read_b64 v[6:7], v0
	v_accvgpr_read_b32 v8, a20
	v_accvgpr_read_b32 v9, a21
	v_add_co_u32_e32 v8, vcc, v8, v2
	v_addc_co_u32_e32 v9, vcc, 0, v9, vcc
	v_accvgpr_write_b32 a21, v9
	v_accvgpr_write_b32 a20, v8
	s_waitcnt lgkmcnt(0)
	v_cmp_lt_u64_e32 vcc, v[6:7], v[8:9]
	s_and_saveexec_b64 s[44:45], vcc
	s_cbranch_execz .LBB8_1221
; %bb.1213:                             ;   in Loop: Header=BB8_1163 Depth=1
	s_mov_b32 s56, 0
	s_mov_b64 s[46:47], 0
                                        ; implicit-def: $sgpr48_sgpr49
                                        ; implicit-def: $sgpr50_sgpr51
	s_branch .LBB8_1215
.LBB8_1214:                             ;   in Loop: Header=BB8_1215 Depth=2
	s_or_b64 exec, exec, s[54:55]
	s_and_b64 vcc, exec, vcc
	s_or_b64 s[46:47], vcc, s[46:47]
	s_andn2_b64 vcc, s[48:49], exec
	s_and_b64 s[48:49], s[50:51], exec
	s_or_b64 s[48:49], vcc, s[48:49]
	s_andn2_b64 exec, exec, s[46:47]
	s_cbranch_execz .LBB8_1219
.LBB8_1215:                             ;   Parent Loop BB8_1163 Depth=1
                                        ; =>  This Inner Loop Header: Depth=2
	s_add_i32 s56, s56, 1
	s_cmpk_lg_i32 s56, 0x2710
	s_cselect_b64 s[52:53], -1, 0
	s_and_b64 vcc, exec, s[52:53]
                                        ; implicit-def: $sgpr54_sgpr55
	s_cbranch_vccnz .LBB8_1217
; %bb.1216:                             ;   in Loop: Header=BB8_1215 Depth=2
	s_trap 2
	ds_read_b64 v[6:7], v0
	s_andn2_b64 s[52:53], s[52:53], exec
	s_mov_b32 s56, 0
	s_mov_b64 s[54:55], -1
	s_waitcnt lgkmcnt(0)
	flat_load_dword v0, v[6:7] glc
	s_waitcnt vmcnt(0) lgkmcnt(0)
	buffer_invl2
	buffer_wbinvl1_vol
	v_cmp_eq_u32_e32 vcc, 0, v0
	s_and_b64 vcc, vcc, exec
	s_or_b64 s[52:53], s[52:53], vcc
.LBB8_1217:                             ;   in Loop: Header=BB8_1215 Depth=2
	s_andn2_b64 s[50:51], s[50:51], exec
	s_and_b64 s[54:55], s[54:55], exec
	s_mov_b64 vcc, -1
	s_or_b64 s[50:51], s[50:51], s[54:55]
	s_and_saveexec_b64 s[54:55], s[52:53]
	s_cbranch_execz .LBB8_1214
; %bb.1218:                             ;   in Loop: Header=BB8_1215 Depth=2
	s_sleep 1
	s_trap 2
	ds_read_b64 v[6:7], v0
	v_accvgpr_read_b32 v8, a20
	v_accvgpr_read_b32 v9, a21
	s_andn2_b64 s[50:51], s[50:51], exec
	s_waitcnt lgkmcnt(0)
	v_cmp_ge_u64_e32 vcc, v[6:7], v[8:9]
	s_orn2_b64 vcc, vcc, exec
	s_branch .LBB8_1214
.LBB8_1219:                             ;   in Loop: Header=BB8_1163 Depth=1
	s_or_b64 exec, exec, s[46:47]
	s_and_saveexec_b64 vcc, s[48:49]
	s_xor_b64 vcc, exec, vcc
	s_cbranch_execz .LBB8_1221
; %bb.1220:                             ;   in Loop: Header=BB8_1163 Depth=1
	ds_write_b32 v0, v61
	s_trap 2
.LBB8_1221:                             ;   in Loop: Header=BB8_1163 Depth=1
	s_or_b64 exec, exec, s[44:45]
	;;#ASMSTART
	s_wakeup
	;;#ASMEND
.LBB8_1222:                             ;   in Loop: Header=BB8_1163 Depth=1
	s_or_b64 exec, exec, s[42:43]
.LBB8_1223:                             ;   in Loop: Header=BB8_1163 Depth=1
	s_andn2_saveexec_b64 vcc, s[40:41]
	s_cbranch_execz .LBB8_1225
; %bb.1224:                             ;   in Loop: Header=BB8_1163 Depth=1
	s_waitcnt vmcnt(0) lgkmcnt(0)
	buffer_wbinvl1_vol
	s_barrier
.LBB8_1225:                             ;   in Loop: Header=BB8_1163 Depth=1
	s_or_b64 exec, exec, vcc
.LBB8_1226:                             ;   in Loop: Header=BB8_1163 Depth=1
	s_or_b64 exec, exec, s[20:21]
	s_trap 2
	ds_read_b64 v[6:7], v0
	s_waitcnt lgkmcnt(0)
	v_readfirstlane_b32 s20, v6
	v_readfirstlane_b32 s21, v7
	s_cmp_eq_u64 s[20:21], 0
	s_cselect_b64 s[20:21], -1, 0
	s_or_b64 vcc, s[20:21], s[20:21]
	s_mov_b64 s[20:21], 0
	s_and_b64 vcc, exec, vcc
	s_cbranch_vccnz .LBB8_1284
; %bb.1227:                             ;   in Loop: Header=BB8_1163 Depth=1
	s_mov_b64 s[20:21], -1
	s_and_saveexec_b64 s[40:41], s[14:15]
	s_cbranch_execz .LBB8_1229
; %bb.1228:                             ;   in Loop: Header=BB8_1163 Depth=1
	ds_read_b32 v0, v0 offset:720
	s_waitcnt lgkmcnt(0)
	v_and_b32_e32 v0, 15, v0
	v_cmp_eq_u32_e32 vcc, 0, v0
	s_orn2_b64 s[20:21], vcc, exec
.LBB8_1229:                             ;   in Loop: Header=BB8_1163 Depth=1
	s_or_b64 exec, exec, s[40:41]
	s_and_saveexec_b64 s[40:41], s[16:17]
	s_cbranch_execz .LBB8_1231
; %bb.1230:                             ;   in Loop: Header=BB8_1163 Depth=1
	ds_read_b32 v0, v0 offset:784
	s_waitcnt lgkmcnt(0)
	v_and_b32_e32 v0, 15, v0
	v_cmp_eq_u32_e32 vcc, 0, v0
	s_and_b64 vcc, s[20:21], vcc
	s_andn2_b64 s[20:21], s[20:21], exec
	s_and_b64 vcc, vcc, exec
	s_or_b64 s[20:21], s[20:21], vcc
.LBB8_1231:                             ;   in Loop: Header=BB8_1163 Depth=1
	s_or_b64 exec, exec, s[40:41]
	s_xor_b64 s[20:21], s[20:21], -1
	v_cndmask_b32_e64 v0, 0, 1, s[20:21]
	;;#ASMSTART
	;;#ASMEND
	s_trap 2
	ds_read_b64 v[38:39], v0
	v_cmp_eq_u32_e32 vcc, 0, v10
	v_cndmask_b32_e32 v37, 0, v3, vcc
	v_lshlrev_b32_e32 v26, 1, v37
	s_mov_b64 s[20:21], -1
	v_cmp_ne_u32_e32 vcc, 0, v0
	s_cbranch_vccz .LBB8_1240
; %bb.1232:                             ;   in Loop: Header=BB8_1163 Depth=1
	s_mov_b64 s[40:41], -1
	s_mov_b32 s42, 0
	s_cbranch_execnz .LBB8_1241
.LBB8_1233:                             ;   in Loop: Header=BB8_1163 Depth=1
	v_lshrrev_b32_e32 v0, 10, v37
	s_waitcnt lgkmcnt(0)
	v_add_co_u32_e32 v48, vcc, v38, v58
	v_sub_u32_e32 v52, v0, v5
	v_addc_co_u32_e32 v49, vcc, v39, v59, vcc
	v_cmp_lt_i32_e32 vcc, 0, v52
	s_mov_b64 s[42:43], 0
                                        ; implicit-def: $vgpr10_vgpr11
                                        ; implicit-def: $vgpr14_vgpr15
	s_and_saveexec_b64 s[20:21], vcc
	s_cbranch_execz .LBB8_1243
; %bb.1234:                             ;   in Loop: Header=BB8_1163 Depth=1
	s_trap 2
	ds_read_b64 v[6:7], v0
	s_mov_b64 s[46:47], 0
                                        ; implicit-def: $sgpr44_sgpr45
                                        ; implicit-def: $vgpr10_vgpr11
                                        ; implicit-def: $vgpr14_vgpr15
	s_waitcnt lgkmcnt(0)
	v_add_co_u32_e32 v50, vcc, v6, v58
	v_addc_co_u32_e32 v51, vcc, v7, v59, vcc
	s_branch .LBB8_1236
.LBB8_1235:                             ;   in Loop: Header=BB8_1236 Depth=2
	s_or_b64 exec, exec, s[48:49]
	v_add_co_u32_e32 v8, vcc, v48, v52
	v_addc_co_u32_e32 v9, vcc, v49, v53, vcc
	s_waitcnt vmcnt(0)
	global_store_dwordx4 v[48:49], v[18:21], off glc slc
	s_waitcnt vmcnt(1)
	global_store_dwordx4 v[48:49], v[22:25], off offset:1024 glc slc
	v_add_co_u32_e32 v48, vcc, 0x800, v8
	v_addc_co_u32_e32 v49, vcc, 0, v9, vcc
	v_add_co_u32_e32 v50, vcc, v50, v52
	v_addc_co_u32_e32 v51, vcc, v51, v53, vcc
	v_sub_u32_e32 v52, v6, v7
	v_cmp_gt_i32_e32 vcc, 1, v52
	s_or_b64 s[42:43], vcc, s[42:43]
	s_andn2_b64 vcc, s[44:45], exec
	s_and_b64 s[44:45], s[46:47], exec
	s_or_b64 s[44:45], vcc, s[44:45]
	s_andn2_b64 exec, exec, s[42:43]
	s_cbranch_execz .LBB8_1242
.LBB8_1236:                             ;   Parent Loop BB8_1163 Depth=1
                                        ; =>  This Inner Loop Header: Depth=2
	global_load_dwordx4 v[18:21], v[50:51], off glc slc
	global_load_dwordx4 v[22:25], v[50:51], off offset:1024 glc slc
	s_and_saveexec_b64 s[48:49], s[46:47]
	s_cbranch_execz .LBB8_1238
; %bb.1237:                             ;   in Loop: Header=BB8_1236 Depth=2
	v_add_co_u32_e32 v6, vcc, v48, v27
	v_addc_co_u32_e32 v7, vcc, v49, v54, vcc
	global_store_dwordx4 v[48:49], v[10:13], off glc slc
	global_store_dwordx4 v[48:49], v[14:17], off offset:1024 glc slc
	v_pk_mov_b32 v[48:49], v[6:7], v[6:7] op_sel:[0,1]
.LBB8_1238:                             ;   in Loop: Header=BB8_1236 Depth=2
	s_or_b64 exec, exec, s[48:49]
	v_add_co_u32_e32 v50, vcc, v50, v27
	v_sub_u32_e32 v6, v52, v2
	v_addc_co_u32_e32 v51, vcc, v51, v54, vcc
	v_cmp_lt_i32_e64 s[46:47], 0, v6
	v_mov_b32_e32 v7, 0
	v_pk_mov_b32 v[52:53], 0, 0
	s_and_saveexec_b64 s[48:49], s[46:47]
	s_cbranch_execz .LBB8_1235
; %bb.1239:                             ;   in Loop: Header=BB8_1236 Depth=2
	global_load_dwordx4 v[10:13], v[50:51], off glc slc
	global_load_dwordx4 v[14:17], v[50:51], off offset:1024 glc slc
	v_add_co_u32_e32 v50, vcc, 0x800, v50
	v_addc_co_u32_e32 v51, vcc, 0, v51, vcc
	v_mov_b32_e32 v7, v2
	v_pk_mov_b32 v[52:53], v[28:29], v[28:29] op_sel:[0,1]
	s_branch .LBB8_1235
.LBB8_1240:                             ;   in Loop: Header=BB8_1163 Depth=1
	s_mov_b64 s[40:41], 0
                                        ; implicit-def: $sgpr42
	s_andn2_b64 vcc, exec, s[20:21]
	s_cbranch_vccz .LBB8_1233
.LBB8_1241:                             ;   in Loop: Header=BB8_1163 Depth=1
	v_mov_b32_e32 v16, s42
	v_mov_b32_e32 v17, v4
	;; [unrolled: 1-line block ×3, first 2 shown]
	s_and_saveexec_b64 s[20:21], s[40:41]
	s_cbranch_execnz .LBB8_1262
	s_branch .LBB8_1283
.LBB8_1242:                             ;   in Loop: Header=BB8_1163 Depth=1
	s_or_b64 exec, exec, s[42:43]
	s_and_b64 s[42:43], s[44:45], exec
.LBB8_1243:                             ;   in Loop: Header=BB8_1163 Depth=1
	s_or_b64 exec, exec, s[20:21]
	s_and_saveexec_b64 s[20:21], s[42:43]
	s_cbranch_execz .LBB8_1245
; %bb.1244:                             ;   in Loop: Header=BB8_1163 Depth=1
	global_store_dwordx4 v[48:49], v[10:13], off glc slc
	global_store_dwordx4 v[48:49], v[14:17], off offset:1024 glc slc
.LBB8_1245:                             ;   in Loop: Header=BB8_1163 Depth=1
	s_or_b64 exec, exec, s[20:21]
	v_lshlrev_b32_e32 v22, 11, v0
	v_cmp_ne_u32_e32 vcc, v26, v22
                                        ; implicit-def: $vgpr16
                                        ; implicit-def: $vgpr17
                                        ; implicit-def: $vgpr6
	s_and_saveexec_b64 s[42:43], vcc
	s_cbranch_execz .LBB8_1261
; %bb.1246:                             ;   in Loop: Header=BB8_1163 Depth=1
	v_lshlrev_b32_e32 v0, 6, v52
	v_sub_u32_e32 v0, v4, v0
	v_ashrrev_i32_e32 v7, 31, v0
	v_lshrrev_b32_e32 v7, 26, v7
	v_add_u32_e32 v7, v0, v7
	v_ashrrev_i32_e32 v8, 6, v7
	v_and_b32_e32 v7, 0xffffffc0, v7
	v_sub_u32_e32 v23, v0, v7
	v_lshlrev_b32_e32 v0, 4, v23
	v_sub_u32_e32 v6, v26, v22
	v_lshl_add_u32 v7, v8, 10, v0
	v_add_u32_e32 v0, v7, v22
	v_sub_u32_e32 v49, v6, v7
	v_ashrrev_i32_e32 v7, 31, v6
	v_lshrrev_b32_e32 v7, 22, v7
	v_add_u32_e32 v7, v6, v7
	v_and_b32_e32 v24, 0xfffffc00, v7
	v_sub_u32_e32 v48, v6, v24
	v_ashrrev_i32_e32 v9, 10, v7
	v_cmp_lt_i32_e64 s[20:21], 15, v48
	v_addc_co_u32_e64 v6, vcc, 0, v9, s[20:21]
	v_ashrrev_i32_e32 v13, 31, v0
	v_add_co_u32_e32 v18, vcc, v0, v38
	v_addc_co_u32_e32 v19, vcc, v13, v39, vcc
	v_sub_u32_e32 v25, v6, v8
	v_cmp_lt_i32_e32 vcc, 15, v49
	s_mov_b64 s[46:47], 0
                                        ; implicit-def: $vgpr10_vgpr11
	s_and_saveexec_b64 s[44:45], vcc
	s_cbranch_execz .LBB8_1256
; %bb.1247:                             ;   in Loop: Header=BB8_1163 Depth=1
	s_trap 2
	ds_read_b64 v[6:7], v0
	s_mov_b64 s[50:51], 0
                                        ; implicit-def: $sgpr48_sgpr49
                                        ; implicit-def: $vgpr10_vgpr11
	s_waitcnt lgkmcnt(0)
	v_add_co_u32_e32 v20, vcc, v6, v0
	v_addc_co_u32_e32 v21, vcc, v7, v13, vcc
	s_branch .LBB8_1249
.LBB8_1248:                             ;   in Loop: Header=BB8_1249 Depth=2
	s_or_b64 exec, exec, s[52:53]
	v_cmp_gt_i32_e32 vcc, 16, v49
	s_or_b64 s[46:47], vcc, s[46:47]
	s_andn2_b64 vcc, s[48:49], exec
	s_and_b64 s[48:49], s[50:51], exec
	s_or_b64 s[48:49], vcc, s[48:49]
	s_andn2_b64 exec, exec, s[46:47]
	s_cbranch_execz .LBB8_1255
.LBB8_1249:                             ;   Parent Loop BB8_1163 Depth=1
                                        ; =>  This Inner Loop Header: Depth=2
	global_load_dwordx4 v[14:17], v[20:21], off glc slc
	s_and_saveexec_b64 s[52:53], s[50:51]
	s_cbranch_execz .LBB8_1251
; %bb.1250:                             ;   in Loop: Header=BB8_1249 Depth=2
	v_add_co_u32_e32 v6, vcc, v18, v44
	v_addc_co_u32_e32 v7, vcc, v19, v45, vcc
	global_store_dwordx4 v[18:19], v[10:13], off glc slc
	v_pk_mov_b32 v[18:19], v[6:7], v[6:7] op_sel:[0,1]
.LBB8_1251:                             ;   in Loop: Header=BB8_1249 Depth=2
	s_or_b64 exec, exec, s[52:53]
	v_add_co_u32_e32 v20, vcc, v20, v44
	v_sub_u32_e32 v49, v49, v55
	v_addc_co_u32_e32 v21, vcc, v21, v45, vcc
	v_cmp_lt_i32_e64 s[50:51], 15, v49
	s_and_saveexec_b64 s[52:53], s[50:51]
	s_cbranch_execz .LBB8_1253
; %bb.1252:                             ;   in Loop: Header=BB8_1249 Depth=2
	global_load_dwordx4 v[10:13], v[20:21], off glc slc
	v_add_co_u32_e32 v20, vcc, 0x400, v20
	v_addc_co_u32_e32 v21, vcc, 0, v21, vcc
.LBB8_1253:                             ;   in Loop: Header=BB8_1249 Depth=2
	s_or_b64 exec, exec, s[52:53]
	s_waitcnt vmcnt(0)
	global_store_dwordx4 v[18:19], v[14:17], off glc slc
	v_add_co_u32_e32 v18, vcc, 0x400, v18
	v_sub_u32_e32 v25, v25, v2
	v_addc_co_u32_e32 v19, vcc, 0, v19, vcc
	s_and_saveexec_b64 s[52:53], s[50:51]
	s_cbranch_execz .LBB8_1248
; %bb.1254:                             ;   in Loop: Header=BB8_1249 Depth=2
	v_add_co_u32_e32 v18, vcc, v18, v30
	v_addc_co_u32_e32 v19, vcc, v19, v31, vcc
	v_add_co_u32_e32 v20, vcc, v20, v30
	v_addc_co_u32_e32 v21, vcc, v21, v31, vcc
	v_sub_u32_e32 v49, v49, v55
	v_sub_u32_e32 v25, v25, v2
	s_branch .LBB8_1248
.LBB8_1255:                             ;   in Loop: Header=BB8_1163 Depth=1
	s_or_b64 exec, exec, s[46:47]
	s_and_b64 s[46:47], s[48:49], exec
.LBB8_1256:                             ;   in Loop: Header=BB8_1163 Depth=1
	s_or_b64 exec, exec, s[44:45]
	s_and_saveexec_b64 vcc, s[46:47]
	s_cbranch_execz .LBB8_1258
; %bb.1257:                             ;   in Loop: Header=BB8_1163 Depth=1
	global_store_dwordx4 v[18:19], v[10:13], off glc slc
.LBB8_1258:                             ;   in Loop: Header=BB8_1163 Depth=1
	s_or_b64 exec, exec, vcc
	v_and_b32_e32 v0, 14, v26
	v_cndmask_b32_e64 v26, v48, v0, s[20:21]
	v_cmp_ne_u32_e32 vcc, 0, v26
	s_mov_b64 s[46:47], s[40:41]
                                        ; implicit-def: $vgpr16
                                        ; implicit-def: $vgpr17
                                        ; implicit-def: $vgpr6
	s_and_saveexec_b64 s[44:45], vcc
	s_cbranch_execz .LBB8_1260
; %bb.1259:                             ;   in Loop: Header=BB8_1163 Depth=1
	v_sub_u32_e32 v0, v48, v0
	v_cndmask_b32_e64 v0, 0, v0, s[20:21]
	v_cmp_lt_i32_e32 vcc, 0, v25
	v_add3_u32 v16, v24, v22, v0
	v_cndmask_b32_e32 v0, 0, v2, vcc
	v_sub_u32_e32 v0, v0, v25
	v_lshl_add_u32 v0, v0, 6, v23
	v_ashrrev_i32_e32 v6, 31, v0
	v_lshrrev_b32_e32 v6, 26, v6
	v_add_u32_e32 v7, v0, v6
	v_ashrrev_i32_e32 v6, 6, v7
	v_and_b32_e32 v7, 0xffffffc0, v7
	v_sub_u32_e32 v17, v0, v7
	s_or_b64 s[46:47], s[40:41], exec
.LBB8_1260:                             ;   in Loop: Header=BB8_1163 Depth=1
	s_or_b64 exec, exec, s[44:45]
	s_andn2_b64 s[20:21], s[40:41], exec
	s_and_b64 vcc, s[46:47], exec
	s_or_b64 s[40:41], s[20:21], vcc
.LBB8_1261:                             ;   in Loop: Header=BB8_1163 Depth=1
	s_or_b64 exec, exec, s[42:43]
	s_and_saveexec_b64 s[20:21], s[40:41]
	s_cbranch_execz .LBB8_1283
.LBB8_1262:                             ;   in Loop: Header=BB8_1163 Depth=1
	v_lshlrev_b32_e32 v0, 10, v6
	v_lshlrev_b32_e32 v7, 1, v17
	v_add3_u32 v0, v16, v7, v0
	v_ashrrev_i32_e32 v7, 31, v26
	v_lshrrev_b32_e32 v7, 22, v7
	v_add_u32_e32 v7, v26, v7
	v_ashrrev_i32_e32 v18, 10, v7
	v_ashrrev_i32_e32 v13, 31, v0
	s_waitcnt lgkmcnt(0)
	v_add_co_u32_e32 v10, vcc, v38, v0
	v_sub_u32_e32 v14, v18, v6
	v_addc_co_u32_e32 v11, vcc, v39, v13, vcc
	v_cmp_lt_i32_e32 vcc, 0, v14
	s_mov_b64 s[42:43], 0
                                        ; implicit-def: $vgpr19
                                        ; implicit-def: $vgpr20
                                        ; implicit-def: $vgpr21
                                        ; implicit-def: $vgpr22
                                        ; implicit-def: $vgpr23
                                        ; implicit-def: $vgpr24
                                        ; implicit-def: $vgpr25
                                        ; implicit-def: $vgpr48
	s_and_saveexec_b64 s[40:41], vcc
	s_cbranch_execz .LBB8_1270
; %bb.1263:                             ;   in Loop: Header=BB8_1163 Depth=1
	s_trap 2
	ds_read_b64 v[6:7], v0
	s_mov_b64 s[46:47], 0
                                        ; implicit-def: $sgpr44_sgpr45
                                        ; implicit-def: $vgpr19
                                        ; implicit-def: $vgpr20
                                        ; implicit-def: $vgpr21
                                        ; implicit-def: $vgpr22
                                        ; implicit-def: $vgpr23
                                        ; implicit-def: $vgpr24
                                        ; implicit-def: $vgpr25
                                        ; implicit-def: $vgpr48
	s_waitcnt lgkmcnt(0)
	v_add_co_u32_e32 v12, vcc, v6, v0
	v_addc_co_u32_e32 v13, vcc, v7, v13, vcc
	s_branch .LBB8_1265
.LBB8_1264:                             ;   in Loop: Header=BB8_1265 Depth=2
	s_or_b64 exec, exec, s[48:49]
	s_waitcnt vmcnt(0) lgkmcnt(0)
	flat_store_short v[10:11], v0 glc slc
	flat_store_short v[10:11], v49 offset:128 glc slc
	flat_store_short v[10:11], v50 offset:256 glc slc
	;; [unrolled: 1-line block ×7, first 2 shown]
	v_add_co_u32_e32 v0, vcc, v10, v14
	v_addc_co_u32_e32 v8, vcc, v11, v15, vcc
	v_add_co_u32_e32 v10, vcc, s59, v0
	v_addc_co_u32_e32 v11, vcc, 0, v8, vcc
	;; [unrolled: 2-line block ×3, first 2 shown]
	v_sub_u32_e32 v14, v6, v7
	v_cmp_gt_i32_e32 vcc, 1, v14
	s_or_b64 s[42:43], vcc, s[42:43]
	s_andn2_b64 vcc, s[44:45], exec
	s_and_b64 s[44:45], s[46:47], exec
	s_or_b64 s[44:45], vcc, s[44:45]
	s_andn2_b64 exec, exec, s[42:43]
	s_cbranch_execz .LBB8_1269
.LBB8_1265:                             ;   Parent Loop BB8_1163 Depth=1
                                        ; =>  This Inner Loop Header: Depth=2
	flat_load_ushort v0, v[12:13] glc slc
	flat_load_ushort v49, v[12:13] offset:128 glc slc
	flat_load_ushort v50, v[12:13] offset:256 glc slc
	flat_load_ushort v51, v[12:13] offset:384 glc slc
	flat_load_ushort v52, v[12:13] offset:512 glc slc
	flat_load_ushort v53, v[12:13] offset:640 glc slc
	flat_load_ushort v40, v[12:13] offset:768 glc slc
	flat_load_ushort v41, v[12:13] offset:896 glc slc
	s_and_saveexec_b64 s[48:49], s[46:47]
	s_cbranch_execz .LBB8_1267
; %bb.1266:                             ;   in Loop: Header=BB8_1265 Depth=2
	flat_store_short v[10:11], v19 glc slc
	flat_store_short v[10:11], v20 offset:128 glc slc
	flat_store_short v[10:11], v21 offset:256 glc slc
	flat_store_short v[10:11], v22 offset:384 glc slc
	flat_store_short v[10:11], v23 offset:512 glc slc
	flat_store_short v[10:11], v24 offset:640 glc slc
	flat_store_short v[10:11], v25 offset:768 glc slc
	flat_store_short v[10:11], v48 offset:896 glc slc
	v_add_co_u32_e32 v10, vcc, v10, v44
	v_addc_co_u32_e32 v11, vcc, v11, v45, vcc
.LBB8_1267:                             ;   in Loop: Header=BB8_1265 Depth=2
	s_or_b64 exec, exec, s[48:49]
	v_add_co_u32_e32 v12, vcc, v12, v44
	v_sub_u32_e32 v6, v14, v2
	v_addc_co_u32_e32 v13, vcc, v13, v45, vcc
	v_cmp_lt_i32_e64 s[46:47], 0, v6
	v_mov_b32_e32 v7, 0
	v_pk_mov_b32 v[14:15], 0, 0
	s_and_saveexec_b64 s[48:49], s[46:47]
	s_cbranch_execz .LBB8_1264
; %bb.1268:                             ;   in Loop: Header=BB8_1265 Depth=2
	flat_load_ushort v19, v[12:13] glc slc
	flat_load_ushort v20, v[12:13] offset:128 glc slc
	flat_load_ushort v21, v[12:13] offset:256 glc slc
	;; [unrolled: 1-line block ×7, first 2 shown]
	v_add_co_u32_e32 v12, vcc, 0x400, v12
	v_addc_co_u32_e32 v13, vcc, 0, v13, vcc
	v_mov_b32_e32 v7, v2
	v_pk_mov_b32 v[14:15], v[30:31], v[30:31] op_sel:[0,1]
	s_branch .LBB8_1264
.LBB8_1269:                             ;   in Loop: Header=BB8_1163 Depth=1
	s_or_b64 exec, exec, s[42:43]
	s_and_b64 s[42:43], s[44:45], exec
.LBB8_1270:                             ;   in Loop: Header=BB8_1163 Depth=1
	s_or_b64 exec, exec, s[40:41]
	s_and_saveexec_b64 vcc, s[42:43]
	s_cbranch_execz .LBB8_1272
; %bb.1271:                             ;   in Loop: Header=BB8_1163 Depth=1
	flat_store_short v[10:11], v19 glc slc
	flat_store_short v[10:11], v20 offset:128 glc slc
	flat_store_short v[10:11], v21 offset:256 glc slc
	;; [unrolled: 1-line block ×7, first 2 shown]
.LBB8_1272:                             ;   in Loop: Header=BB8_1163 Depth=1
	s_or_b64 exec, exec, vcc
	v_lshlrev_b32_e32 v0, 10, v18
	v_cmp_ne_u32_e32 vcc, v26, v0
	s_and_b64 exec, exec, vcc
	s_cbranch_execz .LBB8_1283
; %bb.1273:                             ;   in Loop: Header=BB8_1163 Depth=1
	v_lshlrev_b32_e32 v6, 6, v14
	v_sub_u32_e32 v6, v17, v6
	v_ashrrev_i32_e32 v7, 31, v6
	v_lshrrev_b32_e32 v7, 26, v7
	v_add_u32_e32 v7, v6, v7
	v_and_b32_e32 v8, 0x7fffffc0, v7
	v_sub_u32_e32 v6, v6, v8
	v_lshlrev_b32_e32 v7, 1, v7
	v_and_b32_e32 v7, 0xffffff80, v7
	v_lshlrev_b32_e32 v6, 1, v6
	v_add3_u32 v6, v7, v6, v0
	v_add_u32_e32 v0, v6, v16
	v_ashrrev_i32_e32 v13, 31, v0
	v_add_co_u32_e32 v10, vcc, v38, v0
	v_sub_u32_e32 v6, v26, v6
	v_addc_co_u32_e32 v11, vcc, v39, v13, vcc
	v_cmp_lt_i32_e32 vcc, 1, v6
	s_mov_b64 s[42:43], 0
                                        ; implicit-def: $vgpr16
	s_and_saveexec_b64 s[40:41], vcc
	s_cbranch_execz .LBB8_1281
; %bb.1274:                             ;   in Loop: Header=BB8_1163 Depth=1
	s_trap 2
	ds_read_b64 v[8:9], v0
	s_mov_b64 s[46:47], 0
                                        ; implicit-def: $sgpr44_sgpr45
                                        ; implicit-def: $vgpr16
	s_waitcnt lgkmcnt(0)
	v_add_co_u32_e32 v12, vcc, v8, v0
	v_addc_co_u32_e32 v13, vcc, v9, v13, vcc
	s_branch .LBB8_1276
.LBB8_1275:                             ;   in Loop: Header=BB8_1276 Depth=2
	s_or_b64 exec, exec, s[48:49]
	s_waitcnt vmcnt(0) lgkmcnt(0)
	flat_store_short v[10:11], v0 glc slc
	v_add_co_u32_e32 v0, vcc, v10, v14
	v_addc_co_u32_e32 v8, vcc, v11, v15, vcc
	v_add_co_u32_e32 v12, vcc, v12, v14
	v_addc_co_u32_e32 v13, vcc, v13, v15, vcc
	;; [unrolled: 2-line block ×3, first 2 shown]
	v_sub_u32_e32 v6, v6, v7
	v_cmp_gt_i32_e32 vcc, 2, v6
	s_or_b64 s[42:43], vcc, s[42:43]
	s_andn2_b64 vcc, s[44:45], exec
	s_and_b64 s[44:45], s[46:47], exec
	s_or_b64 s[44:45], vcc, s[44:45]
	s_andn2_b64 exec, exec, s[42:43]
	s_cbranch_execz .LBB8_1280
.LBB8_1276:                             ;   Parent Loop BB8_1163 Depth=1
                                        ; =>  This Inner Loop Header: Depth=2
	flat_load_ushort v0, v[12:13] glc slc
	s_and_saveexec_b64 s[48:49], s[46:47]
	s_cbranch_execz .LBB8_1278
; %bb.1277:                             ;   in Loop: Header=BB8_1276 Depth=2
	v_add_co_u32_e32 v8, vcc, v10, v57
	v_addc_co_u32_e32 v9, vcc, v11, v60, vcc
	flat_store_short v[10:11], v16 glc slc
	v_pk_mov_b32 v[10:11], v[8:9], v[8:9] op_sel:[0,1]
.LBB8_1278:                             ;   in Loop: Header=BB8_1276 Depth=2
	s_or_b64 exec, exec, s[48:49]
	v_add_co_u32_e32 v12, vcc, v12, v57
	v_sub_u32_e32 v6, v6, v56
	v_addc_co_u32_e32 v13, vcc, v13, v60, vcc
	v_cmp_lt_i32_e64 s[46:47], 1, v6
	v_mov_b32_e32 v7, 0
	v_pk_mov_b32 v[14:15], 0, 0
	s_and_saveexec_b64 s[48:49], s[46:47]
	s_cbranch_execz .LBB8_1275
; %bb.1279:                             ;   in Loop: Header=BB8_1276 Depth=2
	flat_load_ushort v16, v[12:13] glc slc
	v_add_co_u32_e32 v12, vcc, 0x80, v12
	v_addc_co_u32_e32 v13, vcc, 0, v13, vcc
	v_mov_b32_e32 v7, v56
	v_pk_mov_b32 v[14:15], v[32:33], v[32:33] op_sel:[0,1]
	s_branch .LBB8_1275
.LBB8_1280:                             ;   in Loop: Header=BB8_1163 Depth=1
	s_or_b64 exec, exec, s[42:43]
	s_and_b64 s[42:43], s[44:45], exec
.LBB8_1281:                             ;   in Loop: Header=BB8_1163 Depth=1
	s_or_b64 exec, exec, s[40:41]
	s_and_b64 exec, exec, s[42:43]
	s_cbranch_execz .LBB8_1283
; %bb.1282:                             ;   in Loop: Header=BB8_1163 Depth=1
	flat_store_short v[10:11], v16 glc slc
.LBB8_1283:                             ;   in Loop: Header=BB8_1163 Depth=1
	s_or_b64 exec, exec, s[20:21]
	v_cmp_ne_u32_e64 s[20:21], 0, v37
.LBB8_1284:                             ;   in Loop: Header=BB8_1163 Depth=1
	s_and_saveexec_b64 s[40:41], s[10:11]
	s_cbranch_execz .LBB8_1303
; %bb.1285:                             ;   in Loop: Header=BB8_1163 Depth=1
	s_and_saveexec_b64 vcc, s[30:31]
	s_xor_b64 s[42:43], exec, vcc
	s_cbranch_execz .LBB8_1300
; %bb.1286:                             ;   in Loop: Header=BB8_1163 Depth=1
	s_and_saveexec_b64 s[44:45], s[12:13]
	s_cbranch_execz .LBB8_1299
; %bb.1287:                             ;   in Loop: Header=BB8_1163 Depth=1
	s_mov_b64 s[48:49], exec
	v_mbcnt_lo_u32_b32 v0, s48, 0
	v_mbcnt_hi_u32_b32 v0, s49, v0
	v_cmp_eq_u32_e32 vcc, 0, v0
	s_waitcnt vmcnt(0) lgkmcnt(0)
	buffer_wbinvl1_vol
	s_and_saveexec_b64 s[46:47], vcc
	s_cbranch_execz .LBB8_1289
; %bb.1288:                             ;   in Loop: Header=BB8_1163 Depth=1
	s_bcnt1_i32_b64 vcc_lo, s[48:49]
	v_mov_b32_e32 v0, vcc_lo
	ds_add_u64 v0, v[0:1]
	s_trap 2
.LBB8_1289:                             ;   in Loop: Header=BB8_1163 Depth=1
	s_or_b64 exec, exec, s[46:47]
	s_trap 2
	ds_read_b64 v[6:7], v0
	v_accvgpr_read_b32 v8, a20
	v_accvgpr_read_b32 v9, a21
	v_add_co_u32_e32 v8, vcc, v8, v2
	v_addc_co_u32_e32 v9, vcc, 0, v9, vcc
	v_accvgpr_write_b32 a21, v9
	v_accvgpr_write_b32 a20, v8
	s_waitcnt lgkmcnt(0)
	v_cmp_lt_u64_e32 vcc, v[6:7], v[8:9]
	s_and_saveexec_b64 s[46:47], vcc
	s_cbranch_execz .LBB8_1298
; %bb.1290:                             ;   in Loop: Header=BB8_1163 Depth=1
	s_mov_b32 s61, 0
	s_mov_b64 s[48:49], 0
                                        ; implicit-def: $sgpr50_sgpr51
                                        ; implicit-def: $sgpr52_sgpr53
	s_branch .LBB8_1292
.LBB8_1291:                             ;   in Loop: Header=BB8_1292 Depth=2
	s_or_b64 exec, exec, s[56:57]
	s_and_b64 vcc, exec, vcc
	s_or_b64 s[48:49], vcc, s[48:49]
	s_andn2_b64 vcc, s[50:51], exec
	s_and_b64 s[50:51], s[52:53], exec
	s_or_b64 s[50:51], vcc, s[50:51]
	s_andn2_b64 exec, exec, s[48:49]
	s_cbranch_execz .LBB8_1296
.LBB8_1292:                             ;   Parent Loop BB8_1163 Depth=1
                                        ; =>  This Inner Loop Header: Depth=2
	s_add_i32 s61, s61, 1
	s_cmpk_lg_i32 s61, 0x2710
	s_cselect_b64 s[54:55], -1, 0
	s_and_b64 vcc, exec, s[54:55]
                                        ; implicit-def: $sgpr56_sgpr57
	s_cbranch_vccnz .LBB8_1294
; %bb.1293:                             ;   in Loop: Header=BB8_1292 Depth=2
	s_trap 2
	ds_read_b64 v[6:7], v0
	s_andn2_b64 s[54:55], s[54:55], exec
	s_mov_b32 s61, 0
	s_mov_b64 s[56:57], -1
	s_waitcnt lgkmcnt(0)
	flat_load_dword v0, v[6:7] glc
	s_waitcnt vmcnt(0) lgkmcnt(0)
	buffer_invl2
	buffer_wbinvl1_vol
	v_cmp_eq_u32_e32 vcc, 0, v0
	s_and_b64 vcc, vcc, exec
	s_or_b64 s[54:55], s[54:55], vcc
.LBB8_1294:                             ;   in Loop: Header=BB8_1292 Depth=2
	s_andn2_b64 s[52:53], s[52:53], exec
	s_and_b64 s[56:57], s[56:57], exec
	s_mov_b64 vcc, -1
	s_or_b64 s[52:53], s[52:53], s[56:57]
	s_and_saveexec_b64 s[56:57], s[54:55]
	s_cbranch_execz .LBB8_1291
; %bb.1295:                             ;   in Loop: Header=BB8_1292 Depth=2
	s_sleep 1
	s_trap 2
	ds_read_b64 v[6:7], v0
	v_accvgpr_read_b32 v8, a20
	v_accvgpr_read_b32 v9, a21
	s_andn2_b64 s[52:53], s[52:53], exec
	s_waitcnt lgkmcnt(0)
	v_cmp_ge_u64_e32 vcc, v[6:7], v[8:9]
	s_orn2_b64 vcc, vcc, exec
	s_branch .LBB8_1291
.LBB8_1296:                             ;   in Loop: Header=BB8_1163 Depth=1
	s_or_b64 exec, exec, s[48:49]
	s_and_saveexec_b64 vcc, s[50:51]
	s_xor_b64 vcc, exec, vcc
	s_cbranch_execz .LBB8_1298
; %bb.1297:                             ;   in Loop: Header=BB8_1163 Depth=1
	ds_write_b32 v0, v61
	s_trap 2
.LBB8_1298:                             ;   in Loop: Header=BB8_1163 Depth=1
	s_or_b64 exec, exec, s[46:47]
	;;#ASMSTART
	s_wakeup
	;;#ASMEND
.LBB8_1299:                             ;   in Loop: Header=BB8_1163 Depth=1
	s_or_b64 exec, exec, s[44:45]
.LBB8_1300:                             ;   in Loop: Header=BB8_1163 Depth=1
	s_andn2_saveexec_b64 vcc, s[42:43]
	s_cbranch_execz .LBB8_1302
; %bb.1301:                             ;   in Loop: Header=BB8_1163 Depth=1
	s_waitcnt vmcnt(0) lgkmcnt(0)
	buffer_wbinvl1_vol
	s_barrier
.LBB8_1302:                             ;   in Loop: Header=BB8_1163 Depth=1
	s_or_b64 exec, exec, vcc
.LBB8_1303:                             ;   in Loop: Header=BB8_1163 Depth=1
	s_or_b64 exec, exec, s[40:41]
	v_and_b32_e32 v0, 16, v62
	v_cmp_ne_u32_e32 vcc, 0, v0
	s_and_b64 vcc, vcc, s[20:21]
	s_and_saveexec_b64 s[20:21], vcc
	s_cbranch_execz .LBB8_1305
; %bb.1304:                             ;   in Loop: Header=BB8_1163 Depth=1
	s_waitcnt vmcnt(0) lgkmcnt(0)
	buffer_wbinvl1_vol
.LBB8_1305:                             ;   in Loop: Header=BB8_1163 Depth=1
	s_or_b64 exec, exec, s[20:21]
	v_cmp_ne_u32_e32 vcc, 0, v0
	s_and_saveexec_b64 s[20:21], vcc
	s_cbranch_execz .LBB8_1309
; %bb.1306:                             ;   in Loop: Header=BB8_1163 Depth=1
	s_and_saveexec_b64 vcc, s[18:19]
	s_cbranch_execz .LBB8_1308
; %bb.1307:                             ;   in Loop: Header=BB8_1163 Depth=1
	v_accvgpr_read_b32 v6, a24
	v_accvgpr_read_b32 v7, a25
	flat_store_dword v[6:7], v61
.LBB8_1308:                             ;   in Loop: Header=BB8_1163 Depth=1
	s_or_b64 exec, exec, vcc
	v_accvgpr_read_b32 v6, a12
	v_accvgpr_read_b32 v8, a14
	;; [unrolled: 1-line block ×3, first 2 shown]
	v_add_co_u32_e32 v8, vcc, 1, v8
	v_addc_co_u32_e32 v9, vcc, 0, v9, vcc
	v_accvgpr_read_b32 v7, a13
	v_accvgpr_write_b32 a15, v9
	v_accvgpr_write_b32 a14, v8
	;; [unrolled: 1-line block ×4, first 2 shown]
	flat_store_dwordx2 v[42:43], v[8:9]
.LBB8_1309:                             ;   in Loop: Header=BB8_1163 Depth=1
	s_or_b64 exec, exec, s[20:21]
	v_mov_b32_e32 v0, v3
.LBB8_1310:                             ;   in Loop: Header=BB8_1163 Depth=1
	s_or_b64 exec, exec, s[38:39]
	s_and_saveexec_b64 s[38:39], s[36:37]
	s_cbranch_execz .LBB8_1162
; %bb.1311:                             ;   in Loop: Header=BB8_1163 Depth=1
	v_and_b32_e32 v6, 8, v62
	v_cmp_ne_u32_e32 vcc, 0, v6
	s_mov_b64 s[36:37], -1
	s_and_saveexec_b64 s[20:21], vcc
	s_cbranch_execz .LBB8_1323
; %bb.1312:                             ;   in Loop: Header=BB8_1163 Depth=1
	v_add_co_u32_e32 v6, vcc, 8, v46
	v_accvgpr_read_b32 v8, a12
	v_addc_co_u32_e32 v7, vcc, 0, v47, vcc
	v_accvgpr_read_b32 v10, a14
	v_accvgpr_read_b32 v11, a15
	v_add_co_u32_e32 v10, vcc, 1, v10
	v_addc_co_u32_e32 v11, vcc, 0, v11, vcc
	v_cmp_lt_u64_e32 vcc, v[6:7], v[10:11]
	v_mov_b32_e32 v6, 1
	v_accvgpr_read_b32 v9, a13
	s_and_saveexec_b64 s[36:37], vcc
	s_cbranch_execz .LBB8_1322
; %bb.1313:                             ;   in Loop: Header=BB8_1163 Depth=1
	s_mov_b64 s[40:41], 0
	v_mov_b32_e32 v6, 0
                                        ; implicit-def: $sgpr42_sgpr43
	s_branch .LBB8_1317
.LBB8_1314:                             ;   in Loop: Header=BB8_1317 Depth=2
	s_or_b64 exec, exec, s[50:51]
	v_mov_b32_e32 v7, 0
	s_orn2_b64 s[48:49], s[48:49], exec
.LBB8_1315:                             ;   in Loop: Header=BB8_1317 Depth=2
	s_or_b64 exec, exec, s[46:47]
	s_andn2_b64 vcc, s[42:43], exec
	s_and_b64 s[42:43], s[48:49], exec
	s_or_b64 s[42:43], vcc, s[42:43]
	v_mov_b32_e32 v6, v7
.LBB8_1316:                             ;   in Loop: Header=BB8_1317 Depth=2
	s_or_b64 exec, exec, s[44:45]
	s_waitcnt vmcnt(0) lgkmcnt(0)
	v_add_co_u32_e32 v8, vcc, 8, v46
	v_addc_co_u32_e32 v9, vcc, 0, v47, vcc
	v_cmp_ge_u64_e32 vcc, v[8:9], v[10:11]
	s_xor_b64 s[44:45], s[42:43], -1
	s_or_b64 vcc, s[44:45], vcc
	s_and_b64 vcc, exec, vcc
	s_or_b64 s[40:41], vcc, s[40:41]
	s_andn2_b64 exec, exec, s[40:41]
	s_cbranch_execz .LBB8_1321
.LBB8_1317:                             ;   Parent Loop BB8_1163 Depth=1
                                        ; =>  This Inner Loop Header: Depth=2
	s_sleep 1
	flat_load_dwordx2 v[46:47], v[42:43] glc
	v_and_b32_e32 v7, 64, v62
	v_cmp_eq_u32_e32 vcc, 0, v7
	s_andn2_b64 s[42:43], s[42:43], exec
	s_and_saveexec_b64 s[44:45], vcc
	s_cbranch_execz .LBB8_1316
; %bb.1318:                             ;   in Loop: Header=BB8_1317 Depth=2
	v_add_u32_e32 v7, 1, v6
	v_cmp_lt_i32_e32 vcc, s60, v6
	s_mov_b64 s[48:49], -1
	s_and_saveexec_b64 s[46:47], vcc
	s_cbranch_execz .LBB8_1315
; %bb.1319:                             ;   in Loop: Header=BB8_1317 Depth=2
	s_trap 2
	ds_read_b64 v[6:7], v0
	s_waitcnt vmcnt(0) lgkmcnt(0)
	flat_load_dword v6, v[6:7] glc
	s_waitcnt vmcnt(0) lgkmcnt(0)
	buffer_invl2
	buffer_wbinvl1_vol
	v_cmp_ne_u32_e32 vcc, 0, v6
	s_and_saveexec_b64 s[50:51], vcc
	s_cbranch_execz .LBB8_1314
; %bb.1320:                             ;   in Loop: Header=BB8_1317 Depth=2
	v_or_b32_e32 v62, 64, v62
	s_xor_b64 s[48:49], exec, -1
	ds_write_b32 v0, v6
	s_trap 2
	s_branch .LBB8_1314
.LBB8_1321:                             ;   in Loop: Header=BB8_1163 Depth=1
	s_or_b64 exec, exec, s[40:41]
	v_and_b32_e32 v6, 8, v62
.LBB8_1322:                             ;   in Loop: Header=BB8_1163 Depth=1
	s_or_b64 exec, exec, s[36:37]
	v_cmp_eq_u32_e32 vcc, 0, v6
	s_orn2_b64 s[36:37], vcc, exec
	;;#ASMSTART
	s_wakeup
	;;#ASMEND
.LBB8_1323:                             ;   in Loop: Header=BB8_1163 Depth=1
	s_or_b64 exec, exec, s[20:21]
	v_sub_u32_e32 v0, v36, v0
	s_xor_b64 s[20:21], s[36:37], -1
	v_min_i32_e32 v10, v3, v0
	s_and_saveexec_b64 s[36:37], s[20:21]
	s_cbranch_execz .LBB8_1333
; %bb.1324:                             ;   in Loop: Header=BB8_1163 Depth=1
	v_accvgpr_read_b32 v6, a12
	v_and_b32_e32 v0, 0x100, v62
	v_accvgpr_read_b32 v8, a14
	v_cmp_ne_u32_e32 vcc, 0, v0
	v_and_b32_e32 v0, 7, v8
	s_mov_b64 s[20:21], -1
	v_accvgpr_read_b32 v7, a13
	v_accvgpr_read_b32 v9, a15
                                        ; implicit-def: $vgpr12_vgpr13
	s_and_saveexec_b64 s[40:41], vcc
	s_cbranch_execz .LBB8_1328
; %bb.1325:                             ;   in Loop: Header=BB8_1163 Depth=1
	v_accvgpr_read_b32 v6, a12
	v_accvgpr_read_b32 v7, a13
	v_mad_u64_u32 v[14:15], s[20:21], v0, 24, v[6:7]
	flat_load_dword v3, v[14:15]
	v_ashrrev_i32_e32 v11, 31, v10
	v_lshlrev_b64 v[6:7], 1, v[10:11]
	v_accvgpr_read_b32 v8, a14
	v_accvgpr_read_b32 v9, a15
	flat_store_dwordx2 v[14:15], v[6:7] offset:8
                                        ; implicit-def: $vgpr12_vgpr13
	s_waitcnt vmcnt(0) lgkmcnt(0)
	v_cmp_ne_u32_e32 vcc, 1, v3
	v_cmp_eq_u32_e64 s[20:21], 1, v3
	s_and_saveexec_b64 s[42:43], s[20:21]
	s_cbranch_execz .LBB8_1327
; %bb.1326:                             ;   in Loop: Header=BB8_1163 Depth=1
	flat_load_dword v6, v[14:15] offset:4 glc
	s_waitcnt vmcnt(0) lgkmcnt(0)
	v_ashrrev_i32_e32 v7, 31, v6
	v_lshrrev_b64 v[12:13], 1, v[6:7]
.LBB8_1327:                             ;   in Loop: Header=BB8_1163 Depth=1
	s_or_b64 exec, exec, s[42:43]
	s_orn2_b64 s[20:21], vcc, exec
.LBB8_1328:                             ;   in Loop: Header=BB8_1163 Depth=1
	s_or_b64 exec, exec, s[40:41]
	s_and_saveexec_b64 vcc, s[20:21]
; %bb.1329:                             ;   in Loop: Header=BB8_1163 Depth=1
	v_accvgpr_read_b32 v6, a16
	v_mad_i64_i32 v[12:13], s[20:21], v0, v6, 0
; %bb.1330:                             ;   in Loop: Header=BB8_1163 Depth=1
	s_or_b64 exec, exec, vcc
	v_lshlrev_b64 v[6:7], 1, v[12:13]
	v_accvgpr_read_b32 v8, a18
	v_accvgpr_read_b32 v9, a19
	v_add_co_u32_e32 v6, vcc, v8, v6
	v_addc_co_u32_e32 v7, vcc, v9, v7, vcc
	ds_write_b64 v0, v[6:7] offset:784
	v_and_b32_e32 v0, 0x2000, v62
	v_cmp_ne_u32_e32 vcc, 0, v0
	s_and_saveexec_b64 s[20:21], vcc
	s_cbranch_execz .LBB8_1332
; %bb.1331:                             ;   in Loop: Header=BB8_1163 Depth=1
	ds_read_b64 v[6:7], v0 offset:584
	s_waitcnt lgkmcnt(0)
	v_add_co_u32_e32 v6, vcc, 1, v6
	v_addc_co_u32_e32 v7, vcc, 0, v7, vcc
	ds_write_b64 v0, v[6:7] offset:584
.LBB8_1332:                             ;   in Loop: Header=BB8_1163 Depth=1
	s_or_b64 exec, exec, s[20:21]
	v_accvgpr_read_b32 v6, a12
	v_accvgpr_read_b32 v8, a14
	v_accvgpr_read_b32 v9, a15
	v_add_co_u32_e32 v8, vcc, 1, v8
	v_addc_co_u32_e32 v9, vcc, 0, v9, vcc
	v_accvgpr_read_b32 v7, a13
	v_accvgpr_write_b32 a15, v9
	v_accvgpr_write_b32 a14, v8
	;; [unrolled: 1-line block ×4, first 2 shown]
.LBB8_1333:                             ;   in Loop: Header=BB8_1163 Depth=1
	s_or_b64 exec, exec, s[36:37]
	s_and_saveexec_b64 s[20:21], s[10:11]
	s_cbranch_execz .LBB8_1352
; %bb.1334:                             ;   in Loop: Header=BB8_1163 Depth=1
	s_and_saveexec_b64 vcc, s[30:31]
	s_xor_b64 s[36:37], exec, vcc
	s_cbranch_execz .LBB8_1349
; %bb.1335:                             ;   in Loop: Header=BB8_1163 Depth=1
	s_and_saveexec_b64 s[40:41], s[12:13]
	s_cbranch_execz .LBB8_1348
; %bb.1336:                             ;   in Loop: Header=BB8_1163 Depth=1
	s_mov_b64 s[44:45], exec
	v_mbcnt_lo_u32_b32 v0, s44, 0
	v_mbcnt_hi_u32_b32 v0, s45, v0
	v_cmp_eq_u32_e32 vcc, 0, v0
	s_waitcnt vmcnt(0) lgkmcnt(0)
	buffer_wbinvl1_vol
	s_and_saveexec_b64 s[42:43], vcc
	s_cbranch_execz .LBB8_1338
; %bb.1337:                             ;   in Loop: Header=BB8_1163 Depth=1
	s_bcnt1_i32_b64 vcc_lo, s[44:45]
	v_mov_b32_e32 v0, vcc_lo
	ds_add_u64 v0, v[0:1]
	s_trap 2
.LBB8_1338:                             ;   in Loop: Header=BB8_1163 Depth=1
	s_or_b64 exec, exec, s[42:43]
	s_trap 2
	ds_read_b64 v[6:7], v0
	v_accvgpr_read_b32 v8, a20
	v_accvgpr_read_b32 v9, a21
	v_add_co_u32_e32 v8, vcc, v8, v2
	v_addc_co_u32_e32 v9, vcc, 0, v9, vcc
	v_accvgpr_write_b32 a21, v9
	v_accvgpr_write_b32 a20, v8
	s_waitcnt lgkmcnt(0)
	v_cmp_lt_u64_e32 vcc, v[6:7], v[8:9]
	s_and_saveexec_b64 s[42:43], vcc
	s_cbranch_execz .LBB8_1347
; %bb.1339:                             ;   in Loop: Header=BB8_1163 Depth=1
	s_mov_b32 s54, 0
	s_mov_b64 s[44:45], 0
                                        ; implicit-def: $sgpr46_sgpr47
                                        ; implicit-def: $sgpr48_sgpr49
	s_branch .LBB8_1341
.LBB8_1340:                             ;   in Loop: Header=BB8_1341 Depth=2
	s_or_b64 exec, exec, s[52:53]
	s_and_b64 vcc, exec, vcc
	s_or_b64 s[44:45], vcc, s[44:45]
	s_andn2_b64 vcc, s[46:47], exec
	s_and_b64 s[46:47], s[48:49], exec
	s_or_b64 s[46:47], vcc, s[46:47]
	s_andn2_b64 exec, exec, s[44:45]
	s_cbranch_execz .LBB8_1345
.LBB8_1341:                             ;   Parent Loop BB8_1163 Depth=1
                                        ; =>  This Inner Loop Header: Depth=2
	s_add_i32 s54, s54, 1
	s_cmpk_lg_i32 s54, 0x2710
	s_cselect_b64 s[50:51], -1, 0
	s_and_b64 vcc, exec, s[50:51]
                                        ; implicit-def: $sgpr52_sgpr53
	s_cbranch_vccnz .LBB8_1343
; %bb.1342:                             ;   in Loop: Header=BB8_1341 Depth=2
	s_trap 2
	ds_read_b64 v[6:7], v0
	s_andn2_b64 s[50:51], s[50:51], exec
	s_mov_b32 s54, 0
	s_mov_b64 s[52:53], -1
	s_waitcnt lgkmcnt(0)
	flat_load_dword v0, v[6:7] glc
	s_waitcnt vmcnt(0) lgkmcnt(0)
	buffer_invl2
	buffer_wbinvl1_vol
	v_cmp_eq_u32_e32 vcc, 0, v0
	s_and_b64 vcc, vcc, exec
	s_or_b64 s[50:51], s[50:51], vcc
.LBB8_1343:                             ;   in Loop: Header=BB8_1341 Depth=2
	s_andn2_b64 s[48:49], s[48:49], exec
	s_and_b64 s[52:53], s[52:53], exec
	s_mov_b64 vcc, -1
	s_or_b64 s[48:49], s[48:49], s[52:53]
	s_and_saveexec_b64 s[52:53], s[50:51]
	s_cbranch_execz .LBB8_1340
; %bb.1344:                             ;   in Loop: Header=BB8_1341 Depth=2
	s_sleep 1
	s_trap 2
	ds_read_b64 v[6:7], v0
	v_accvgpr_read_b32 v8, a20
	v_accvgpr_read_b32 v9, a21
	s_andn2_b64 s[48:49], s[48:49], exec
	s_waitcnt lgkmcnt(0)
	v_cmp_ge_u64_e32 vcc, v[6:7], v[8:9]
	s_orn2_b64 vcc, vcc, exec
	s_branch .LBB8_1340
.LBB8_1345:                             ;   in Loop: Header=BB8_1163 Depth=1
	s_or_b64 exec, exec, s[44:45]
	s_and_saveexec_b64 vcc, s[46:47]
	s_xor_b64 vcc, exec, vcc
	s_cbranch_execz .LBB8_1347
; %bb.1346:                             ;   in Loop: Header=BB8_1163 Depth=1
	ds_write_b32 v0, v61
	s_trap 2
.LBB8_1347:                             ;   in Loop: Header=BB8_1163 Depth=1
	s_or_b64 exec, exec, s[42:43]
	;;#ASMSTART
	s_wakeup
	;;#ASMEND
.LBB8_1348:                             ;   in Loop: Header=BB8_1163 Depth=1
	s_or_b64 exec, exec, s[40:41]
.LBB8_1349:                             ;   in Loop: Header=BB8_1163 Depth=1
	s_andn2_saveexec_b64 vcc, s[36:37]
	s_cbranch_execz .LBB8_1351
; %bb.1350:                             ;   in Loop: Header=BB8_1163 Depth=1
	s_waitcnt vmcnt(0) lgkmcnt(0)
	buffer_wbinvl1_vol
	s_barrier
.LBB8_1351:                             ;   in Loop: Header=BB8_1163 Depth=1
	s_or_b64 exec, exec, vcc
.LBB8_1352:                             ;   in Loop: Header=BB8_1163 Depth=1
	s_or_b64 exec, exec, s[20:21]
	s_trap 2
	ds_read_b32 v3, v0
	v_cmp_lt_i32_e32 vcc, 0, v10
	v_and_b32_e32 v0, 16, v62
	s_waitcnt lgkmcnt(0)
	v_readfirstlane_b32 s20, v3
	s_cmp_eq_u32 s20, 0
	s_cselect_b64 s[20:21], -1, 0
	s_and_b64 s[20:21], vcc, s[20:21]
	v_cmp_ne_u32_e32 vcc, 0, v0
	s_and_b64 vcc, vcc, s[20:21]
	s_and_saveexec_b64 s[20:21], vcc
	s_cbranch_execz .LBB8_1354
; %bb.1353:                             ;   in Loop: Header=BB8_1163 Depth=1
	s_waitcnt vmcnt(0)
	buffer_wbinvl1_vol
.LBB8_1354:                             ;   in Loop: Header=BB8_1163 Depth=1
	s_or_b64 exec, exec, s[20:21]
	v_cmp_ne_u32_e32 vcc, 0, v0
	s_and_saveexec_b64 s[20:21], vcc
	s_cbranch_execz .LBB8_1161
; %bb.1355:                             ;   in Loop: Header=BB8_1163 Depth=1
	s_and_saveexec_b64 vcc, s[18:19]
	s_cbranch_execz .LBB8_1160
; %bb.1356:                             ;   in Loop: Header=BB8_1163 Depth=1
	v_accvgpr_read_b32 v6, a24
	v_accvgpr_read_b32 v7, a25
	flat_store_dword v[6:7], v61
	s_branch .LBB8_1160
.LBB8_1357:
	s_or_b64 exec, exec, s[26:27]
	v_accvgpr_read_b32 v25, a11
	v_accvgpr_read_b32 v29, a15
	;; [unrolled: 1-line block ×9, first 2 shown]
.LBB8_1358:
	s_or_b64 exec, exec, s[24:25]
.LBB8_1359:
	s_or_b64 exec, exec, s[22:23]
	v_and_b32_e32 v0, 0x800, v62
	v_cmp_eq_u32_e32 vcc, 0, v0
	s_and_saveexec_b64 s[4:5], vcc
	s_cbranch_execz .LBB8_1394
; %bb.1360:
	v_and_b32_e32 v0, 48, v62
	v_cmp_ne_u32_e32 vcc, 0, v0
	s_and_saveexec_b64 s[6:7], vcc
	s_cbranch_execz .LBB8_1362
; %bb.1361:
	s_waitcnt vmcnt(0) lgkmcnt(0)
	flat_store_dwordx2 v[24:25], v[28:29] offset:104
.LBB8_1362:
	s_or_b64 exec, exec, s[6:7]
	s_movk_i32 s6, 0x88
	v_and_b32_e32 v0, 0x88, v62
	v_cmp_eq_u32_e32 vcc, s6, v0
	s_and_saveexec_b64 s[6:7], vcc
	s_cbranch_execz .LBB8_1374
; %bb.1363:
	s_waitcnt vmcnt(0) lgkmcnt(0)
	v_add_u32_e32 v0, -1, v28
	v_and_b32_e32 v0, 7, v0
	v_mad_u64_u32 v[2:3], s[10:11], v0, 24, v[26:27]
	v_add_co_u32_e32 v6, vcc, 8, v2
	v_addc_co_u32_e32 v7, vcc, 0, v3, vcc
	s_mov_b64 s[10:11], 0
	v_mov_b32_e32 v2, 0
	s_movk_i32 s24, 0x270e
                                        ; implicit-def: $sgpr12_sgpr13
	s_branch .LBB8_1368
.LBB8_1364:                             ;   in Loop: Header=BB8_1368 Depth=1
	s_or_b64 exec, exec, s[22:23]
	v_mov_b32_e32 v3, 0
	s_orn2_b64 s[20:21], s[20:21], exec
.LBB8_1365:                             ;   in Loop: Header=BB8_1368 Depth=1
	s_or_b64 exec, exec, s[18:19]
	s_and_b64 s[18:19], s[20:21], exec
	v_mov_b32_e32 v2, v3
.LBB8_1366:                             ;   in Loop: Header=BB8_1368 Depth=1
	s_or_b64 exec, exec, s[16:17]
	s_xor_b64 s[16:17], s[18:19], -1
	s_andn2_b64 s[12:13], s[12:13], exec
	s_and_b64 s[16:17], s[16:17], exec
	s_or_b64 s[12:13], s[12:13], s[16:17]
.LBB8_1367:                             ;   in Loop: Header=BB8_1368 Depth=1
	s_or_b64 exec, exec, s[14:15]
	s_and_b64 s[14:15], exec, s[12:13]
	s_or_b64 s[10:11], s[14:15], s[10:11]
	s_andn2_b64 exec, exec, s[10:11]
	s_cbranch_execz .LBB8_1373
.LBB8_1368:                             ; =>This Inner Loop Header: Depth=1
	flat_load_dwordx2 v[4:5], v[6:7] glc
	s_waitcnt vmcnt(0)
	s_or_b64 s[12:13], s[12:13], exec
	s_waitcnt lgkmcnt(0)
	v_cmp_ne_u64_e32 vcc, -1, v[4:5]
	s_and_saveexec_b64 s[14:15], vcc
	s_cbranch_execz .LBB8_1367
; %bb.1369:                             ;   in Loop: Header=BB8_1368 Depth=1
	v_and_b32_e32 v3, 64, v62
	v_cmp_eq_u32_e32 vcc, 0, v3
	s_mov_b64 s[18:19], 0
	s_and_saveexec_b64 s[16:17], vcc
	s_cbranch_execz .LBB8_1366
; %bb.1370:                             ;   in Loop: Header=BB8_1368 Depth=1
	v_add_u32_e32 v3, 1, v2
	v_cmp_lt_i32_e32 vcc, s24, v2
	s_mov_b64 s[20:21], -1
	s_and_saveexec_b64 s[18:19], vcc
	s_cbranch_execz .LBB8_1365
; %bb.1371:                             ;   in Loop: Header=BB8_1368 Depth=1
	s_trap 2
	ds_read_b64 v[2:3], v0
	s_waitcnt lgkmcnt(0)
	flat_load_dword v2, v[2:3] glc
	s_waitcnt vmcnt(0) lgkmcnt(0)
	buffer_invl2
	buffer_wbinvl1_vol
	v_cmp_ne_u32_e32 vcc, 0, v2
	s_and_saveexec_b64 s[22:23], vcc
	s_cbranch_execz .LBB8_1364
; %bb.1372:                             ;   in Loop: Header=BB8_1368 Depth=1
	v_or_b32_e32 v62, 64, v62
	s_xor_b64 s[20:21], exec, -1
	ds_write_b32 v0, v2
	s_trap 2
	s_branch .LBB8_1364
.LBB8_1373:
	s_or_b64 exec, exec, s[10:11]
.LBB8_1374:
	s_or_b64 exec, exec, s[6:7]
	v_and_b32_e32 v0, 0x2000, v62
	v_cmp_ne_u32_e32 vcc, 0, v0
	s_and_saveexec_b64 s[6:7], vcc
	s_cbranch_execz .LBB8_1376
; %bb.1375:
	s_trap 2
	ds_read_b64 v[2:3], v0
	v_accvgpr_read_b32 v4, a8
	v_accvgpr_read_b32 v5, a9
	s_waitcnt lgkmcnt(0)
	flat_store_dwordx2 v[4:5], v[2:3] offset:16
.LBB8_1376:
	s_or_b64 exec, exec, s[6:7]
	v_cmp_ne_u32_e32 vcc, 64, v1
	s_and_b64 exec, exec, vcc
	s_cbranch_execz .LBB8_1394
; %bb.1377:
	s_waitcnt vmcnt(0)
	v_cmp_ne_u32_sdwa s[6:7], v19, v1 src0_sel:WORD_0 src1_sel:DWORD
	s_and_saveexec_b64 s[10:11], s[6:7]
	s_xor_b64 s[6:7], exec, s[10:11]
	s_cbranch_execz .LBB8_1392
; %bb.1378:
	v_and_b32_e32 v0, 63, v31
	v_cmp_eq_u32_e32 vcc, 0, v0
	s_and_saveexec_b64 s[10:11], vcc
	s_cbranch_execz .LBB8_1391
; %bb.1379:
	s_mov_b64 s[14:15], exec
	v_mbcnt_lo_u32_b32 v0, s14, 0
	v_mbcnt_hi_u32_b32 v0, s15, v0
	v_cmp_eq_u32_e32 vcc, 0, v0
	s_waitcnt lgkmcnt(0)
	buffer_wbinvl1_vol
	s_and_saveexec_b64 s[12:13], vcc
	s_cbranch_execz .LBB8_1381
; %bb.1380:
	s_bcnt1_i32_b64 s14, s[14:15]
	v_mov_b32_e32 v2, s14
	v_mov_b32_e32 v3, 0
	ds_add_u64 v0, v[2:3]
	s_trap 2
.LBB8_1381:
	s_or_b64 exec, exec, s[12:13]
	v_ashrrev_i32_e32 v0, 31, v1
	v_lshrrev_b32_e32 v0, 26, v0
	v_add_u32_e32 v0, v1, v0
	v_ashrrev_i32_e32 v0, 6, v0
	s_trap 2
	ds_read_b64 v[2:3], v0
	v_accvgpr_read_b32 v4, a20
	v_ashrrev_i32_e32 v1, 31, v0
	v_accvgpr_read_b32 v5, a21
	v_add_co_u32_e32 v0, vcc, v4, v0
	v_addc_co_u32_e32 v1, vcc, v5, v1, vcc
	s_waitcnt lgkmcnt(0)
	v_cmp_lt_u64_e32 vcc, v[2:3], v[0:1]
	s_and_saveexec_b64 s[12:13], vcc
	s_cbranch_execz .LBB8_1390
; %bb.1382:
	s_mov_b32 s26, 0
	s_mov_b64 s[14:15], 0
                                        ; implicit-def: $sgpr16_sgpr17
                                        ; implicit-def: $sgpr18_sgpr19
	s_branch .LBB8_1384
.LBB8_1383:                             ;   in Loop: Header=BB8_1384 Depth=1
	s_or_b64 exec, exec, s[24:25]
	s_and_b64 s[20:21], exec, s[22:23]
	s_or_b64 s[14:15], s[20:21], s[14:15]
	s_andn2_b64 s[16:17], s[16:17], exec
	s_and_b64 s[20:21], s[18:19], exec
	s_or_b64 s[16:17], s[16:17], s[20:21]
	s_andn2_b64 exec, exec, s[14:15]
	s_cbranch_execz .LBB8_1388
.LBB8_1384:                             ; =>This Inner Loop Header: Depth=1
	s_add_i32 s26, s26, 1
	s_cmpk_lg_i32 s26, 0x2710
	s_cselect_b64 s[20:21], -1, 0
	s_and_b64 vcc, exec, s[20:21]
                                        ; implicit-def: $sgpr24_sgpr25
	s_cbranch_vccnz .LBB8_1386
; %bb.1385:                             ;   in Loop: Header=BB8_1384 Depth=1
	s_trap 2
	ds_read_b64 v[2:3], v0
	s_andn2_b64 s[20:21], s[20:21], exec
	s_mov_b32 s26, 0
	s_mov_b64 s[24:25], -1
	s_waitcnt lgkmcnt(0)
	flat_load_dword v2, v[2:3] glc
	s_waitcnt vmcnt(0) lgkmcnt(0)
	buffer_invl2
	buffer_wbinvl1_vol
	v_cmp_eq_u32_e32 vcc, 0, v2
	s_and_b64 s[22:23], vcc, exec
	s_or_b64 s[20:21], s[20:21], s[22:23]
.LBB8_1386:                             ;   in Loop: Header=BB8_1384 Depth=1
	s_andn2_b64 s[18:19], s[18:19], exec
	s_and_b64 s[24:25], s[24:25], exec
	s_mov_b64 s[22:23], -1
	s_or_b64 s[18:19], s[18:19], s[24:25]
	s_and_saveexec_b64 s[24:25], s[20:21]
	s_cbranch_execz .LBB8_1383
; %bb.1387:                             ;   in Loop: Header=BB8_1384 Depth=1
	s_sleep 1
	s_trap 2
	ds_read_b64 v[2:3], v0
	s_andn2_b64 s[18:19], s[18:19], exec
	s_waitcnt lgkmcnt(0)
	v_cmp_ge_u64_e32 vcc, v[2:3], v[0:1]
	s_orn2_b64 s[22:23], vcc, exec
	s_branch .LBB8_1383
.LBB8_1388:
	s_or_b64 exec, exec, s[14:15]
	s_and_saveexec_b64 s[14:15], s[16:17]
	s_xor_b64 s[14:15], exec, s[14:15]
	s_cbranch_execz .LBB8_1390
; %bb.1389:
	v_mov_b32_e32 v0, 1
	ds_write_b32 v0, v0
	s_trap 2
.LBB8_1390:
	s_or_b64 exec, exec, s[12:13]
	;;#ASMSTART
	s_wakeup
	;;#ASMEND
.LBB8_1391:
	s_or_b64 exec, exec, s[10:11]
.LBB8_1392:
	s_andn2_saveexec_b64 s[6:7], s[6:7]
	s_cbranch_execz .LBB8_1394
; %bb.1393:
	s_waitcnt lgkmcnt(0)
	buffer_wbinvl1_vol
	s_barrier
.LBB8_1394:
	s_or_b64 exec, exec, s[4:5]
.LBB8_1395:
	s_andn2_saveexec_b64 s[26:27], s[28:29]
	s_cbranch_execz .LBB8_1397
; %bb.1396:
	s_getpc_b64 s[4:5]
	s_add_u32 s4, s4, __PRETTY_FUNCTION__._ZN10PrimitivesI12hip_bfloat167FuncSumIS0_E12FanSymmetricILi1EELi0E11ProtoSimpleILi1ELi1ELi0ELi2ELi0ELi0EELi0ELb0ELi0ELi1ELi0EEC2EiiPKiS9_PKvPvmhhhP15ncclDevWorkCollP14ncclDevWorkP2pii@rel32@lo+4
	s_addc_u32 s5, s5, __PRETTY_FUNCTION__._ZN10PrimitivesI12hip_bfloat167FuncSumIS0_E12FanSymmetricILi1EELi0E11ProtoSimpleILi1ELi1ELi0ELi2ELi0ELi0EELi0ELb0ELi0ELi1ELi0EEC2EiiPKiS9_PKvPvmhhhP15ncclDevWorkCollP14ncclDevWorkP2pii@rel32@hi+12
	v_mov_b32_e32 v0, s4
	v_mov_b32_e32 v1, s5
	s_getpc_b64 s[6:7]
	s_add_u32 s6, s6, __assert_fail@rel32@lo+4
	s_addc_u32 s7, s7, __assert_fail@rel32@hi+12
	s_swappc_b64 s[30:31], s[6:7]
	; divergent unreachable
.LBB8_1397:
	s_or_b64 exec, exec, s[26:27]
	buffer_load_dword a54, off, s[0:3], s33 ; 4-byte Folded Reload
	buffer_load_dword a53, off, s[0:3], s33 offset:4 ; 4-byte Folded Reload
	buffer_load_dword a52, off, s[0:3], s33 offset:8 ; 4-byte Folded Reload
	;; [unrolled: 1-line block ×33, first 2 shown]
	s_waitcnt lgkmcnt(0)
	buffer_load_dword v43, off, s[0:3], s33 offset:136 ; 4-byte Folded Reload
	buffer_load_dword v42, off, s[0:3], s33 offset:140 ; 4-byte Folded Reload
	;; [unrolled: 1-line block ×4, first 2 shown]
	v_readlane_b32 s30, v63, 39
	v_readlane_b32 s31, v63, 40
	;; [unrolled: 1-line block ×42, first 2 shown]
	s_or_saveexec_b64 s[6:7], -1
	buffer_load_dword v63, off, s[0:3], s33 offset:224 ; 4-byte Folded Reload
	s_mov_b64 exec, s[6:7]
	s_addk_i32 s32, 0xc400
	s_mov_b32 s33, s4
	s_waitcnt vmcnt(0)
	s_setpc_b64 s[30:31]
.Lfunc_end8:
	.size	_ZN12_GLOBAL__N_17runRingI12hip_bfloat167FuncSumIS1_E11ProtoSimpleILi1ELi1ELi0ELi2ELi0ELi0EELi0ELi2ELi1EEEviiP15ncclDevWorkColl, .Lfunc_end8-_ZN12_GLOBAL__N_17runRingI12hip_bfloat167FuncSumIS1_E11ProtoSimpleILi1ELi1ELi0ELi2ELi0ELi0EELi0ELi2ELi1EEEviiP15ncclDevWorkColl
                                        ; -- End function
	.section	.AMDGPU.csdata,"",@progbits
; Function info:
; codeLenInByte = 43140
; NumSgprs: 77
; NumVgprs: 64
; NumAgprs: 55
; TotalNumVgprs: 119
; ScratchSize: 304
; MemoryBound: 1
	.text
	.p2align	2                               ; -- Begin function _Z45ncclDevFunc_Reduce_RING_SIMPLE_Sum_bf16_0_1_2v
	.type	_Z45ncclDevFunc_Reduce_RING_SIMPLE_Sum_bf16_0_1_2v,@function
_Z45ncclDevFunc_Reduce_RING_SIMPLE_Sum_bf16_0_1_2v: ; @_Z45ncclDevFunc_Reduce_RING_SIMPLE_Sum_bf16_0_1_2v
; %bb.0:
	s_waitcnt vmcnt(0) expcnt(0) lgkmcnt(0)
	s_mov_b32 s4, s33
	s_mov_b32 s33, s32
	s_or_saveexec_b64 s[6:7], -1
	buffer_store_dword v43, off, s[0:3], s33 offset:16 ; 4-byte Folded Spill
	s_mov_b64 exec, s[6:7]
	v_writelane_b32 v43, s4, 49
	s_addk_i32 s32, 0x800
	buffer_store_dword v40, off, s[0:3], s33 offset:12 ; 4-byte Folded Spill
	buffer_store_dword v41, off, s[0:3], s33 offset:8 ; 4-byte Folded Spill
	;; [unrolled: 1-line block ×3, first 2 shown]
	buffer_store_dword v63, off, s[0:3], s33 ; 4-byte Folded Spill
	v_writelane_b32 v43, s34, 0
	v_writelane_b32 v43, s35, 1
	;; [unrolled: 1-line block ×49, first 2 shown]
	s_trap 2
	ds_read_b32 v0, v0
	v_mov_b32_e32 v40, v31
	s_mov_b32 s73, s12
	s_mov_b64 s[74:75], s[8:9]
	s_waitcnt lgkmcnt(0)
	v_cmp_gt_i32_e32 vcc, 1, v0
	s_cbranch_vccnz .LBB9_8
; %bb.1:
	s_mov_b32 s80, 0
	v_and_b32_e32 v41, 0x3ff, v40
	s_mov_b64 s[76:77], src_shared_base
	v_mov_b32_e32 v42, 6
	s_branch .LBB9_3
.LBB9_2:                                ;   in Loop: Header=BB9_3 Depth=1
	s_or_b64 exec, exec, s[78:79]
	s_trap 2
	ds_read_b32 v0, v0
	s_add_i32 s80, s80, 1
	s_waitcnt lgkmcnt(0)
	v_cmp_lt_i32_e32 vcc, s80, v0
	s_cbranch_vccz .LBB9_8
.LBB9_3:                                ; =>This Inner Loop Header: Depth=1
	s_trap 2
	ds_read_b32 v0, v0
	s_cmp_eq_u32 s80, 0
	s_cbranch_scc1 .LBB9_6
; %bb.4:                                ;   in Loop: Header=BB9_3 Depth=1
	s_trap 2
	s_waitcnt lgkmcnt(0)
	ds_read_b32 v1, v0
	s_waitcnt lgkmcnt(0)
	v_xor_b32_e32 v1, v1, v0
	v_and_b32_e32 v1, 0xff0000, v1
	v_cmp_eq_u32_e32 vcc, 0, v1
	s_cbranch_vccnz .LBB9_6
; %bb.5:                                ;   in Loop: Header=BB9_3 Depth=1
	s_barrier
	ds_read_b32 v0, v0
.LBB9_6:                                ;   in Loop: Header=BB9_3 Depth=1
	s_waitcnt lgkmcnt(0)
	v_lshlrev_b32_sdwa v1, v42, v0 dst_sel:DWORD dst_unused:UNUSED_PAD src0_sel:DWORD src1_sel:BYTE_2
	v_cmp_lt_u32_e32 vcc, v41, v1
	s_and_saveexec_b64 s[78:79], vcc
	s_cbranch_execz .LBB9_2
; %bb.7:                                ;   in Loop: Header=BB9_3 Depth=1
	s_mov_b64 s[8:9], s[74:75]
	s_mov_b32 s12, s73
	v_mov_b32_e32 v31, v40
	v_mov_b32_e32 v0, v41
	;; [unrolled: 1-line block ×3, first 2 shown]
	s_getpc_b64 s[4:5]
	s_add_u32 s4, s4, _ZN12_GLOBAL__N_17runRingI12hip_bfloat167FuncSumIS1_E11ProtoSimpleILi1ELi1ELi0ELi2ELi0ELi0EELi0ELi2ELi1EEEviiP15ncclDevWorkColl@rel32@lo+4
	s_addc_u32 s5, s5, _ZN12_GLOBAL__N_17runRingI12hip_bfloat167FuncSumIS1_E11ProtoSimpleILi1ELi1ELi0ELi2ELi0ELi0EELi0ELi2ELi1EEEviiP15ncclDevWorkColl@rel32@hi+12
	s_swappc_b64 s[30:31], s[4:5]
	s_branch .LBB9_2
.LBB9_8:
	buffer_load_dword v63, off, s[0:3], s33 ; 4-byte Folded Reload
	buffer_load_dword v42, off, s[0:3], s33 offset:4 ; 4-byte Folded Reload
	buffer_load_dword v41, off, s[0:3], s33 offset:8 ; 4-byte Folded Reload
	;; [unrolled: 1-line block ×3, first 2 shown]
	v_readlane_b32 s30, v43, 47
	v_readlane_b32 s31, v43, 48
	v_readlane_b32 s80, v43, 46
	v_readlane_b32 s79, v43, 45
	v_readlane_b32 s78, v43, 44
	v_readlane_b32 s77, v43, 43
	v_readlane_b32 s76, v43, 42
	v_readlane_b32 s75, v43, 41
	v_readlane_b32 s74, v43, 40
	v_readlane_b32 s73, v43, 39
	v_readlane_b32 s72, v43, 38
	v_readlane_b32 s71, v43, 37
	v_readlane_b32 s70, v43, 36
	v_readlane_b32 s69, v43, 35
	v_readlane_b32 s68, v43, 34
	v_readlane_b32 s67, v43, 33
	v_readlane_b32 s66, v43, 32
	v_readlane_b32 s65, v43, 31
	v_readlane_b32 s64, v43, 30
	v_readlane_b32 s63, v43, 29
	v_readlane_b32 s62, v43, 28
	v_readlane_b32 s61, v43, 27
	v_readlane_b32 s60, v43, 26
	v_readlane_b32 s59, v43, 25
	v_readlane_b32 s58, v43, 24
	v_readlane_b32 s57, v43, 23
	v_readlane_b32 s56, v43, 22
	v_readlane_b32 s55, v43, 21
	v_readlane_b32 s54, v43, 20
	v_readlane_b32 s53, v43, 19
	v_readlane_b32 s52, v43, 18
	v_readlane_b32 s51, v43, 17
	v_readlane_b32 s50, v43, 16
	v_readlane_b32 s49, v43, 15
	v_readlane_b32 s48, v43, 14
	v_readlane_b32 s47, v43, 13
	v_readlane_b32 s46, v43, 12
	v_readlane_b32 s45, v43, 11
	v_readlane_b32 s44, v43, 10
	v_readlane_b32 s43, v43, 9
	v_readlane_b32 s42, v43, 8
	v_readlane_b32 s41, v43, 7
	v_readlane_b32 s40, v43, 6
	v_readlane_b32 s39, v43, 5
	v_readlane_b32 s38, v43, 4
	v_readlane_b32 s37, v43, 3
	v_readlane_b32 s36, v43, 2
	v_readlane_b32 s35, v43, 1
	v_readlane_b32 s34, v43, 0
	v_readlane_b32 s4, v43, 49
	s_or_saveexec_b64 s[6:7], -1
	buffer_load_dword v43, off, s[0:3], s33 offset:16 ; 4-byte Folded Reload
	s_mov_b64 exec, s[6:7]
	s_addk_i32 s32, 0xf800
	s_mov_b32 s33, s4
	s_waitcnt vmcnt(0)
	s_setpc_b64 s[30:31]
.Lfunc_end9:
	.size	_Z45ncclDevFunc_Reduce_RING_SIMPLE_Sum_bf16_0_1_2v, .Lfunc_end9-_Z45ncclDevFunc_Reduce_RING_SIMPLE_Sum_bf16_0_1_2v
                                        ; -- End function
	.section	.AMDGPU.csdata,"",@progbits
; Function info:
; codeLenInByte = 1164
; NumSgprs: 85
; NumVgprs: 64
; NumAgprs: 55
; TotalNumVgprs: 119
; ScratchSize: 336
; MemoryBound: 0
	.text
	.p2align	2                               ; -- Begin function _ZN12_GLOBAL__N_17runRingI12hip_bfloat167FuncSumIS1_E11ProtoSimpleILi1ELi1ELi0ELi4ELi0ELi0EELi0ELi4ELi0EEEviiP15ncclDevWorkColl
	.type	_ZN12_GLOBAL__N_17runRingI12hip_bfloat167FuncSumIS1_E11ProtoSimpleILi1ELi1ELi0ELi4ELi0ELi0EELi0ELi4ELi0EEEviiP15ncclDevWorkColl,@function
_ZN12_GLOBAL__N_17runRingI12hip_bfloat167FuncSumIS1_E11ProtoSimpleILi1ELi1ELi0ELi4ELi0ELi0EELi0ELi4ELi0EEEviiP15ncclDevWorkColl: ; @_ZN12_GLOBAL__N_17runRingI12hip_bfloat167FuncSumIS1_E11ProtoSimpleILi1ELi1ELi0ELi4ELi0ELi0EELi0ELi4ELi0EEEviiP15ncclDevWorkColl
; %bb.0:
	s_waitcnt vmcnt(0) expcnt(0) lgkmcnt(0)
	s_mov_b32 s4, s33
	s_mov_b32 s33, s32
	s_or_saveexec_b64 s[6:7], -1
	buffer_store_dword v63, off, s[0:3], s33 offset:32 ; 4-byte Folded Spill
	s_mov_b64 exec, s[6:7]
	v_writelane_b32 v63, s4, 39
	v_accvgpr_write_b32 a25, v40            ;  Reload Reuse
	s_addk_i32 s32, 0xc00
	v_accvgpr_write_b32 a26, v41            ;  Reload Reuse
	v_accvgpr_write_b32 a27, v42            ;  Reload Reuse
	;; [unrolled: 1-line block ×6, first 2 shown]
	buffer_store_dword v47, off, s[0:3], s33 offset:28 ; 4-byte Folded Spill
	buffer_store_dword v56, off, s[0:3], s33 offset:24 ; 4-byte Folded Spill
	;; [unrolled: 1-line block ×7, first 2 shown]
	buffer_store_dword v62, off, s[0:3], s33 ; 4-byte Folded Spill
	v_writelane_b32 v63, s34, 0
	v_writelane_b32 v63, s35, 1
	;; [unrolled: 1-line block ×39, first 2 shown]
	s_trap 2
	ds_read_b64 v[14:15], v0
	ds_read_b32 v6, v0
	v_mov_b32_e32 v7, v1
	v_mov_b32_e32 v58, v0
	flat_load_ushort v17, v[2:3] offset:8
	flat_load_dwordx2 v[8:9], v[2:3]
	s_waitcnt lgkmcnt(0)
	v_ashrrev_i32_e32 v1, 31, v15
	v_mov_b32_e32 v0, v15
	v_lshlrev_b64 v[0:1], 2, v[0:1]
	v_add_co_u32_e32 v0, vcc, v14, v0
	v_addc_co_u32_e32 v1, vcc, v15, v1, vcc
	v_add_co_u32_e32 v0, vcc, -4, v0
	v_addc_co_u32_e32 v1, vcc, -1, v1, vcc
	flat_load_dword v24, v[0:1]
                                        ; implicit-def: $vgpr18_vgpr19
                                        ; implicit-def: $vgpr42_vgpr43
                                        ; implicit-def: $vgpr52_vgpr53
	s_waitcnt vmcnt(0)
	v_mov_b32_e32 v16, v9
	v_cmp_ne_u32_sdwa s[4:5], v8, v6 src0_sel:BYTE_0 src1_sel:DWORD
	s_and_saveexec_b64 s[6:7], s[4:5]
	s_xor_b64 s[4:5], exec, s[6:7]
	s_cbranch_execz .LBB10_6
; %bb.1:
	v_not_b32_sdwa v9, v8 dst_sel:DWORD dst_unused:UNUSED_PAD src0_sel:BYTE_0
	v_cmp_ne_u32_sdwa s[6:7], v8, v6 src0_sel:BYTE_1 src1_sel:DWORD
                                        ; implicit-def: $vgpr18_vgpr19
                                        ; implicit-def: $vgpr42_vgpr43
                                        ; implicit-def: $vgpr52_vgpr53
	s_and_saveexec_b64 s[10:11], s[6:7]
	s_xor_b64 s[6:7], exec, s[10:11]
	s_cbranch_execz .LBB10_3
; %bb.2:
	flat_load_dwordx4 v[10:13], v[2:3] offset:72
	flat_load_dwordx2 v[0:1], v[2:3] offset:96
	v_add_u32_e32 v4, v6, v9
	v_ashrrev_i32_e32 v5, 31, v4
                                        ; implicit-def: $vgpr8
                                        ; implicit-def: $vgpr9
	s_waitcnt vmcnt(0) lgkmcnt(0)
	v_mul_lo_u32 v5, v12, v5
	v_mad_u64_u32 v[52:53], s[10:11], v12, v4, v[10:11]
	v_mul_lo_u32 v4, v13, v4
	v_lshrrev_b64 v[18:19], 13, v[0:1]
	v_add3_u32 v53, v4, v53, v5
	v_pk_mov_b32 v[42:43], v[12:13], v[12:13] op_sel:[0,1]
.LBB10_3:
	s_andn2_saveexec_b64 s[6:7], s[6:7]
	s_cbranch_execz .LBB10_5
; %bb.4:
	flat_load_dwordx4 v[10:13], v[2:3] offset:72
	flat_load_dwordx4 v[42:45], v[2:3] offset:88
	v_add_u32_sdwa v0, v8, v9 dst_sel:DWORD dst_unused:UNUSED_PAD src0_sel:BYTE_1 src1_sel:DWORD
	v_ashrrev_i32_e32 v1, 31, v0
	s_waitcnt vmcnt(0) lgkmcnt(0)
	v_mul_lo_u32 v1, v12, v1
	v_mad_u64_u32 v[52:53], s[10:11], v12, v0, v[10:11]
	v_mul_lo_u32 v0, v13, v0
	v_add3_u32 v53, v0, v53, v1
	v_lshrrev_b32_e32 v18, 2, v45
.LBB10_5:
	s_or_b64 exec, exec, s[6:7]
.LBB10_6:
	s_andn2_saveexec_b64 s[4:5], s[4:5]
	s_cbranch_execz .LBB10_8
; %bb.7:
	flat_load_dwordx2 v[0:1], v[2:3] offset:96
	flat_load_dwordx2 v[42:43], v[2:3] offset:72
	v_pk_mov_b32 v[52:53], 0, 0
	s_waitcnt vmcnt(0) lgkmcnt(0)
	v_lshlrev_b64 v[18:19], 8, v[0:1]
.LBB10_8:
	s_or_b64 exec, exec, s[4:5]
	s_trap 2
	ds_read_b64 v[0:1], v0
	s_waitcnt lgkmcnt(0)
	v_cmp_ne_u32_e32 vcc, -1, v0
	v_cndmask_b32_e64 v15, 0, 1, vcc
	v_cmp_ne_u32_e32 vcc, -1, v1
	v_addc_co_u32_e64 v6, s[4:5], 0, v15, vcc
	v_lshlrev_b32_e32 v0, 1, v6
	v_cmp_le_i32_e64 s[4:5], v0, v7
	s_and_saveexec_b64 s[6:7], s[4:5]
	s_xor_b64 s[24:25], exec, s[6:7]
	s_cbranch_execz .LBB10_868
; %bb.9:
	flat_load_dwordx4 v[10:13], v[2:3] offset:16
	flat_load_dwordx2 v[20:21], v[2:3] offset:104
	s_trap 2
	s_load_dword s4, s[8:9], 0x0
	v_mov_b32_e32 v0, 0
	v_mov_b32_e32 v54, 4
	s_waitcnt lgkmcnt(0)
	s_cmp_lt_u32 s12, s4
	s_cselect_b32 s4, 12, 18
	s_add_u32 s4, s8, s4
	s_addc_u32 s5, s9, 0
	global_load_ushort v8, v0, s[4:5]
	ds_read_b32 v0, v0
	v_cmp_ge_i32_e64 s[4:5], v58, v15
	s_waitcnt lgkmcnt(0)
	v_readfirstlane_b32 s12, v0
	s_and_saveexec_b64 s[6:7], s[4:5]
	s_cbranch_execz .LBB10_19
; %bb.10:
	v_cmp_le_u32_e64 s[4:5], v6, v58
                                        ; implicit-def: $vgpr54
	s_and_saveexec_b64 s[10:11], s[4:5]
	s_xor_b64 s[4:5], exec, s[10:11]
	s_cbranch_execz .LBB10_16
; %bb.11:
	v_cndmask_b32_e64 v0, 0, 1, vcc
	v_sub_u32_e32 v0, v7, v0
	v_cmp_ge_u32_e32 vcc, v58, v0
                                        ; implicit-def: $sgpr13
	s_and_saveexec_b64 s[10:11], vcc
	s_xor_b64 s[10:11], exec, s[10:11]
; %bb.12:
	s_mov_b32 s13, 16
                                        ; implicit-def: $vgpr6
; %bb.13:
	s_or_saveexec_b64 s[10:11], s[10:11]
	v_mov_b32_e32 v54, s13
	s_xor_b64 exec, exec, s[10:11]
; %bb.14:
	v_sub_u32_e32 v0, v7, v6
	v_cmp_ge_i32_e32 vcc, v58, v0
	v_cndmask_b32_e64 v0, 0, 1, vcc
	v_lshlrev_b32_e32 v54, 5, v0
; %bb.15:
	s_or_b64 exec, exec, s[10:11]
.LBB10_16:
	s_andn2_saveexec_b64 s[4:5], s[4:5]
; %bb.17:
	v_mov_b32_e32 v54, 8
; %bb.18:
	s_or_b64 exec, exec, s[4:5]
.LBB10_19:
	s_or_b64 exec, exec, s[6:7]
	v_and_b32_e32 v0, 36, v54
	v_cmp_ne_u32_e32 vcc, 0, v0
	v_mov_b32_e32 v22, -1
	s_and_saveexec_b64 s[4:5], vcc
	s_cbranch_execz .LBB10_21
; %bb.20:
	s_trap 2
	ds_read_b32 v22, v0
.LBB10_21:
	s_or_b64 exec, exec, s[4:5]
	v_and_b32_e32 v0, 24, v54
	v_cmp_ne_u32_e64 s[4:5], 0, v0
	s_and_saveexec_b64 s[6:7], s[4:5]
	s_cbranch_execz .LBB10_23
; %bb.22:
	s_trap 2
	s_waitcnt lgkmcnt(0)
	ds_read_b32 v22, v0
.LBB10_23:
	s_or_b64 exec, exec, s[6:7]
	v_pk_mov_b32 v[26:27], 0, 0
	v_lshrrev_b64 v[0:1], 31, v[16:17]
	v_accvgpr_write_b32 a10, v26
	v_and_b32_e32 v2, 3, v0
	s_waitcnt lgkmcnt(0)
	v_ashrrev_i32_e32 v23, 31, v22
	v_accvgpr_write_b32 a11, v27
                                        ; implicit-def: $agpr6_agpr7
                                        ; implicit-def: $agpr14
                                        ; implicit-def: $vgpr36_vgpr37
                                        ; implicit-def: $agpr16_agpr17
                                        ; implicit-def: $vgpr32_vgpr33
	s_and_saveexec_b64 s[4:5], vcc
	s_cbranch_execz .LBB10_33
; %bb.24:
	s_trap 2
	ds_read_b64 v[0:1], v0
	v_lshlrev_b64 v[4:5], 3, v[22:23]
	v_and_b32_e32 v3, 0xffff, v2
	s_movk_i32 s6, 0xa8
                                        ; implicit-def: $agpr6_agpr7
	s_waitcnt lgkmcnt(0)
	v_add_co_u32_e32 v0, vcc, v0, v4
	v_addc_co_u32_e32 v1, vcc, v1, v5, vcc
	flat_load_dwordx2 v[0:1], v[0:1]
	s_waitcnt vmcnt(0) lgkmcnt(0)
	v_mad_u64_u32 v[0:1], s[6:7], v3, s6, v[0:1]
	flat_load_dword v3, v[0:1] offset:640
	v_add_co_u32_e32 v26, vcc, 0x1f8, v0
	v_addc_co_u32_e32 v27, vcc, 0, v1, vcc
	s_waitcnt vmcnt(0) lgkmcnt(0)
	v_cmp_eq_u32_e32 vcc, 1, v3
	s_and_saveexec_b64 s[6:7], vcc
	s_cbranch_execz .LBB10_26
; %bb.25:
	flat_load_dwordx2 v[4:5], v[26:27] offset:144
	v_or_b32_e32 v54, 0x2000, v54
	s_waitcnt vmcnt(0) lgkmcnt(0)
	flat_load_dwordx2 v[0:1], v[4:5]
	s_trap 2
	v_accvgpr_write_b32 a7, v5
	v_accvgpr_write_b32 a6, v4
	s_waitcnt vmcnt(0) lgkmcnt(0)
	ds_write_b64 v0, v[0:1]
	flat_load_dwordx2 v[0:1], v[4:5] offset:8
	s_waitcnt vmcnt(0) lgkmcnt(0)
	ds_write_b64 v0, v[0:1]
	flat_load_dwordx2 v[0:1], v[4:5] offset:16
	s_waitcnt vmcnt(0) lgkmcnt(0)
	ds_write_b64 v0, v[0:1]
.LBB10_26:
	s_or_b64 exec, exec, s[6:7]
	flat_load_dwordx2 v[36:37], v[26:27] offset:104
	v_and_b32_e32 v0, 32, v54
	v_cmp_ne_u32_e32 vcc, 0, v0
                                        ; implicit-def: $vgpr32_vgpr33
	s_and_saveexec_b64 s[6:7], vcc
	s_cbranch_execz .LBB10_28
; %bb.27:
	flat_load_dwordx2 v[32:33], v[26:27] offset:56
	s_waitcnt vmcnt(0) lgkmcnt(0)
	flat_store_dwordx2 v[32:33], v[36:37]
.LBB10_28:
	s_or_b64 exec, exec, s[6:7]
	v_pk_mov_b32 v[34:35], 0, 0
	v_and_b32_e32 v0, 4, v54
	s_waitcnt vmcnt(0) lgkmcnt(0)
	v_accvgpr_write_b32 a10, v34
	v_cmp_ne_u32_e32 vcc, 0, v0
	v_accvgpr_write_b32 a11, v35
	v_accvgpr_write_b32 a12, v36
	;; [unrolled: 1-line block ×3, first 2 shown]
                                        ; implicit-def: $agpr14
                                        ; implicit-def: $vgpr36_vgpr37
                                        ; implicit-def: $agpr16_agpr17
	s_and_saveexec_b64 s[6:7], vcc
	s_cbranch_execz .LBB10_32
; %bb.29:
	v_and_b32_e32 v0, 0x800, v54
	v_cmp_eq_u32_e32 vcc, 0, v0
	s_and_saveexec_b64 s[10:11], vcc
	s_cbranch_execz .LBB10_31
; %bb.30:
	s_trap 2
	ds_write_b64 v0, v[26:27]
.LBB10_31:
	s_or_b64 exec, exec, s[10:11]
	flat_load_dwordx2 v[32:33], v[26:27] offset:48
	v_accvgpr_read_b32 v51, a13
	v_accvgpr_read_b32 v50, a12
	v_or_b32_e32 v1, 0x100, v54
	s_waitcnt vmcnt(0) lgkmcnt(0)
	flat_load_dwordx2 v[36:37], v[32:33] glc
	flat_load_dword v0, v[26:27] offset:72
	flat_load_dwordx2 v[48:49], v[26:27] offset:96
	flat_load_dwordx2 a[16:17], v[26:27] offset:16
	s_waitcnt vmcnt(0) lgkmcnt(0)
	v_accvgpr_write_b32 a10, v48
	v_ashrrev_i32_e32 v0, 1, v0
	v_cmp_eq_u64_e32 vcc, 0, v[48:49]
	v_accvgpr_write_b32 a14, v0
	v_accvgpr_write_b32 a11, v49
	;; [unrolled: 1-line block ×4, first 2 shown]
	v_cndmask_b32_e32 v54, v1, v54, vcc
.LBB10_32:
	s_or_b64 exec, exec, s[6:7]
.LBB10_33:
	s_or_b64 exec, exec, s[4:5]
	v_and_b32_e32 v0, 24, v54
	v_cmp_ne_u32_e32 vcc, 0, v0
                                        ; implicit-def: $agpr18_agpr19
	s_and_saveexec_b64 s[4:5], vcc
	s_cbranch_execz .LBB10_41
; %bb.34:
	s_trap 2
	ds_read_b64 v[0:1], v0
	v_lshlrev_b64 v[4:5], 3, v[22:23]
	v_and_b32_e32 v2, 0xffff, v2
	s_movk_i32 s6, 0xa8
                                        ; implicit-def: $agpr18_agpr19
	s_waitcnt lgkmcnt(0)
	v_add_co_u32_e32 v0, vcc, v0, v4
	v_addc_co_u32_e32 v1, vcc, v1, v5, vcc
	flat_load_dwordx2 v[0:1], v[0:1]
	s_waitcnt vmcnt(0) lgkmcnt(0)
	v_mad_u64_u32 v[26:27], s[6:7], v2, s6, v[0:1]
	flat_load_dwordx4 v[2:5], v[26:27] offset:96
	v_or_b32_e32 v0, 0x100, v54
	s_waitcnt vmcnt(0) lgkmcnt(0)
	v_cmp_eq_u64_e32 vcc, 0, v[2:3]
	v_cndmask_b32_e32 v54, v0, v54, vcc
	v_accvgpr_write_b32 a13, v5
	v_and_b32_e32 v0, 16, v54
	v_accvgpr_write_b32 a12, v4
	v_accvgpr_write_b32 a11, v3
	;; [unrolled: 1-line block ×3, first 2 shown]
	v_cmp_ne_u32_e32 vcc, 0, v0
	s_and_saveexec_b64 s[6:7], vcc
	s_cbranch_execz .LBB10_36
; %bb.35:
	flat_load_dwordx2 a[18:19], v[26:27] offset:120
	flat_load_dwordx2 v[32:33], v[26:27] offset:48
	;; [unrolled: 1-line block ×3, first 2 shown]
.LBB10_36:
	s_or_b64 exec, exec, s[6:7]
	v_and_b32_e32 v0, 8, v54
	v_cmp_ne_u32_e32 vcc, 0, v0
	s_and_saveexec_b64 s[6:7], vcc
	s_cbranch_execz .LBB10_40
; %bb.37:
	v_and_b32_e32 v0, 0x800, v54
	v_cmp_eq_u32_e32 vcc, 0, v0
	s_and_saveexec_b64 s[10:11], vcc
	s_cbranch_execz .LBB10_39
; %bb.38:
	s_trap 2
	ds_write_b64 v0, v[26:27]
.LBB10_39:
	s_or_b64 exec, exec, s[10:11]
	s_waitcnt vmcnt(0) lgkmcnt(0)
	flat_load_dwordx2 v[32:33], v[26:27] offset:56
	s_waitcnt vmcnt(0) lgkmcnt(0)
	flat_load_dwordx2 v[36:37], v[32:33] glc
	flat_load_dword v0, v[26:27] offset:72
	flat_load_dwordx2 a[16:17], v[26:27] offset:16
	s_waitcnt vmcnt(0) lgkmcnt(0)
	v_ashrrev_i32_e32 v0, 1, v0
	v_accvgpr_write_b32 a14, v0
.LBB10_40:
	s_or_b64 exec, exec, s[6:7]
.LBB10_41:
	s_or_b64 exec, exec, s[4:5]
	v_cmp_eq_u32_e64 s[4:5], 0, v58
	s_and_saveexec_b64 s[6:7], s[4:5]
	s_cbranch_execz .LBB10_43
; %bb.42:
	s_waitcnt vmcnt(0)
	v_mov_b32_e32 v0, v12
	v_mov_b32_e32 v1, v13
	v_mov_b32_e32 v2, v10
	v_mov_b32_e32 v3, v11
	ds_write2_b64 v0, v[0:1], v[2:3] offset1:1
	v_mov_b32_e32 v0, 0
	v_mov_b32_e32 v1, v0
	s_trap 2
	ds_write_b64 v0, v[0:1]
	ds_write_b64 v0, v[20:21]
.LBB10_43:
	s_or_b64 exec, exec, s[6:7]
	s_ashr_i32 s6, s12, 31
	s_lshr_b32 s6, s6, 29
	s_add_i32 s12, s12, s6
	v_bfe_u32 v2, v16, 1, 30
	v_and_b32_e32 v34, 0x1fffff00, v18
	v_mov_b32_e32 v35, 0
	s_ashr_i32 s62, s12, 4
	v_cmp_ne_u32_e32 vcc, v24, v2
                                        ; implicit-def: $vgpr38_vgpr39
	s_and_saveexec_b64 s[6:7], vcc
	s_xor_b64 s[26:27], exec, s[6:7]
	s_cbranch_execz .LBB10_659
; %bb.44:
	v_cmp_ne_u32_e32 vcc, v14, v2
	v_cmp_ne_u64_e64 s[6:7], 0, v[42:43]
                                        ; implicit-def: $vgpr38_vgpr39
	s_and_saveexec_b64 s[10:11], vcc
	s_xor_b64 s[28:29], exec, s[10:11]
	s_cbranch_execz .LBB10_357
; %bb.45:
	v_pk_mov_b32 v[38:39], 0, 0
	s_and_saveexec_b64 s[30:31], s[6:7]
	s_cbranch_execz .LBB10_356
; %bb.46:
	v_accvgpr_read_b32 v0, a14
	v_ashrrev_i32_e32 v9, 31, v0
	v_and_b32_e32 v0, 63, v31
	v_cmp_eq_u32_e64 s[14:15], 0, v0
	v_ashrrev_i32_e32 v0, 31, v58
	v_lshrrev_b32_e32 v0, 26, v0
	v_add_u32_e32 v0, v58, v0
	v_and_b32_e32 v1, 0xffffffc0, v0
	v_ashrrev_i32_e32 v59, 6, v0
	v_sub_u32_e32 v1, v58, v1
	v_lshlrev_b32_e32 v0, 11, v59
	v_lshl_add_u32 v0, v1, 4, v0
	v_lshrrev_b32_e32 v30, 6, v7
	v_cmp_le_i32_e64 s[16:17], v1, v15
	v_cmp_lt_i32_e64 s[18:19], v1, v15
	v_accvgpr_write_b32 a4, v1
	v_accvgpr_write_b32 a20, v0
	v_ashrrev_i32_e32 v1, 31, v0
	v_mov_b32_e32 v0, 0xfffff800
	v_accvgpr_write_b32 a2, v26
	v_lshl_add_u32 v0, v30, 11, v0
	s_movk_i32 s20, 0x800
	v_accvgpr_write_b32 a3, v27
	v_accvgpr_write_b32 a9, v1
	v_ashrrev_i32_e32 v1, 31, v0
	v_add_co_u32_e64 v27, s[20:21], s20, v0
	v_addc_co_u32_e64 v55, s[20:21], 0, v1, s[20:21]
	v_lshlrev_b32_e32 v0, 10, v30
	v_accvgpr_write_b32 a15, v0
	v_add_u32_e32 v0, 0xfffffc00, v0
	s_movk_i32 s20, 0x400
	v_ashrrev_i32_e32 v1, 31, v0
	v_add_co_u32_e64 v26, s[20:21], s20, v0
	v_addc_co_u32_e64 v62, s[20:21], 0, v1, s[20:21]
	v_lshlrev_b32_e32 v60, 7, v30
	v_add_u32_e32 v0, 0xffffff80, v60
	s_movk_i32 s20, 0x80
	v_ashrrev_i32_e32 v1, 31, v0
	v_add_co_u32_e64 v2, s[20:21], s20, v0
	v_mov_b32_e32 v49, v31
	v_addc_co_u32_e64 v31, s[20:21], 0, v1, s[20:21]
	s_waitcnt vmcnt(0) lgkmcnt(0)
	v_accvgpr_read_b32 v0, a18
	v_accvgpr_read_b32 v1, a19
	s_lshr_b32 s10, s62, 27
	v_cmp_eq_u64_e64 s[20:21], 0, v[0:1]
	v_lshlrev_b64 v[0:1], 1, v[52:53]
	s_add_i32 s10, s62, s10
	v_cmp_eq_u32_e32 vcc, 64, v7
	v_pk_mov_b32 v[44:45], 0, 0
	v_accvgpr_write_b32 a23, v1
	s_ashr_i32 s63, s10, 5
	v_cmp_ge_i32_e64 s[10:11], v58, v7
	v_cmp_ne_u32_e64 s[12:13], 64, v7
	v_mov_b32_e32 v50, v8
	v_cmp_ne_u32_sdwa s[34:35], v8, v7 src0_sel:WORD_0 src1_sel:DWORD
	v_mov_b32_e32 v48, v7
	v_mov_b32_e32 v40, 0
	s_movk_i32 s64, 0xff80
	s_mov_b64 s[36:37], 0
	s_movk_i32 s65, 0x270e
	s_movk_i32 s66, 0x108
	v_mov_b32_e32 v22, 1
	s_xor_b64 s[38:39], vcc, -1
	s_mov_b32 s67, 0x7f800000
	s_movk_i32 s68, 0x7fff
	s_mov_b32 s69, 0xffff0000
	v_accvgpr_write_b32 a22, v0
	v_pk_mov_b32 v[38:39], v[44:45], v[44:45] op_sel:[0,1]
	v_mov_b32_e32 v51, v58
	v_accvgpr_write_b32 a5, v9
	v_accvgpr_write_b32 a8, v59
	;; [unrolled: 1-line block ×3, first 2 shown]
	s_trap 2
	s_branch .LBB10_49
.LBB10_47:                              ;   in Loop: Header=BB10_49 Depth=1
	s_or_b64 exec, exec, s[22:23]
.LBB10_48:                              ;   in Loop: Header=BB10_49 Depth=1
	s_or_b64 exec, exec, s[42:43]
	v_add_co_u32_e32 v44, vcc, v44, v34
	v_accvgpr_read_b32 v43, a1
	v_addc_co_u32_e32 v45, vcc, 0, v45, vcc
	v_accvgpr_read_b32 v42, a0
	v_cmp_ge_u64_e32 vcc, v[44:45], v[42:43]
	s_or_b64 s[36:37], vcc, s[36:37]
	s_andn2_b64 exec, exec, s[36:37]
	s_cbranch_execz .LBB10_355
.LBB10_49:                              ; =>This Loop Header: Depth=1
                                        ;     Child Loop BB10_58 Depth 2
                                        ;     Child Loop BB10_86 Depth 2
	;; [unrolled: 1-line block ×10, first 2 shown]
	v_sub_co_u32_e32 v0, vcc, v42, v44
	v_subb_co_u32_e32 v1, vcc, v43, v45, vcc
	v_cmp_lt_u64_e32 vcc, v[34:35], v[0:1]
	v_cndmask_b32_e64 v47, v1, 0, vcc
	v_cndmask_b32_e32 v46, v0, v34, vcc
	v_add_u32_e32 v0, 15, v46
	v_cmp_eq_u64_e32 vcc, 0, v[46:47]
	v_accvgpr_write_b32 a0, v42
	v_and_b32_e32 v0, 0x3ffffff0, v0
	s_or_b64 s[40:41], s[10:11], vcc
	v_accvgpr_write_b32 a1, v43
	v_max_i32_e32 v52, s63, v0
	s_xor_b64 s[22:23], s[40:41], -1
	v_mov_b32_e32 v3, 0
	s_and_saveexec_b64 s[42:43], s[22:23]
	s_cbranch_execz .LBB10_303
; %bb.50:                               ;   in Loop: Header=BB10_49 Depth=1
	s_and_saveexec_b64 s[22:23], s[4:5]
	s_cbranch_execz .LBB10_52
; %bb.51:                               ;   in Loop: Header=BB10_49 Depth=1
	s_trap 2
	ds_read_b64 v[0:1], v0
	v_accvgpr_read_b32 v4, a22
	v_accvgpr_read_b32 v5, a23
	v_mov_b32_e32 v41, v40
	s_waitcnt lgkmcnt(0)
	v_add_co_u32_e32 v3, vcc, v0, v4
	v_addc_co_u32_e32 v4, vcc, v1, v5, vcc
	v_lshlrev_b64 v[0:1], 1, v[44:45]
	v_add_co_u32_e32 v0, vcc, v3, v0
	v_addc_co_u32_e32 v1, vcc, v4, v1, vcc
	ds_write_b64 v0, v[0:1]
	ds_write_b64 v0, v[40:41]
.LBB10_52:                              ;   in Loop: Header=BB10_49 Depth=1
	s_or_b64 exec, exec, s[22:23]
	v_and_b32_e32 v0, 12, v54
	v_cmp_ne_u32_e32 vcc, 0, v0
	s_mov_b64 s[44:45], -1
	s_and_saveexec_b64 s[22:23], vcc
	s_cbranch_execz .LBB10_64
; %bb.53:                               ;   in Loop: Header=BB10_49 Depth=1
	v_and_b32_e32 v10, 8, v54
	v_add_co_u32_e32 v0, vcc, v36, v10
	v_accvgpr_read_b32 v4, a10
	v_addc_co_u32_e32 v1, vcc, 0, v37, vcc
	v_accvgpr_read_b32 v6, a12
	v_accvgpr_read_b32 v7, a13
	v_add_co_u32_e32 v12, vcc, 1, v6
	v_addc_co_u32_e32 v13, vcc, 0, v7, vcc
	v_cmp_lt_u64_e32 vcc, v[0:1], v[12:13]
	v_mov_b32_e32 v3, 1
	v_accvgpr_read_b32 v5, a11
	s_and_saveexec_b64 s[44:45], vcc
	s_cbranch_execz .LBB10_63
; %bb.54:                               ;   in Loop: Header=BB10_49 Depth=1
	s_mov_b64 s[46:47], 0
	v_mov_b32_e32 v3, 0
                                        ; implicit-def: $sgpr48_sgpr49
	s_branch .LBB10_58
.LBB10_55:                              ;   in Loop: Header=BB10_58 Depth=2
	s_or_b64 exec, exec, s[56:57]
	v_mov_b32_e32 v11, 0
	s_orn2_b64 s[54:55], s[54:55], exec
.LBB10_56:                              ;   in Loop: Header=BB10_58 Depth=2
	s_or_b64 exec, exec, s[52:53]
	s_andn2_b64 vcc, s[48:49], exec
	s_and_b64 s[48:49], s[54:55], exec
	s_or_b64 s[48:49], vcc, s[48:49]
	v_mov_b32_e32 v3, v11
.LBB10_57:                              ;   in Loop: Header=BB10_58 Depth=2
	s_or_b64 exec, exec, s[50:51]
	s_waitcnt vmcnt(0) lgkmcnt(0)
	v_add_co_u32_e32 v0, vcc, v36, v10
	v_addc_co_u32_e32 v1, vcc, 0, v37, vcc
	v_cmp_ge_u64_e32 vcc, v[0:1], v[12:13]
	s_xor_b64 s[50:51], s[48:49], -1
	s_or_b64 vcc, s[50:51], vcc
	s_and_b64 vcc, exec, vcc
	s_or_b64 s[46:47], vcc, s[46:47]
	s_andn2_b64 exec, exec, s[46:47]
	s_cbranch_execz .LBB10_62
.LBB10_58:                              ;   Parent Loop BB10_49 Depth=1
                                        ; =>  This Inner Loop Header: Depth=2
	s_sleep 1
	flat_load_dwordx2 v[36:37], v[32:33] glc
	v_and_b32_e32 v0, 64, v54
	v_cmp_eq_u32_e32 vcc, 0, v0
	s_andn2_b64 s[48:49], s[48:49], exec
	s_and_saveexec_b64 s[50:51], vcc
	s_cbranch_execz .LBB10_57
; %bb.59:                               ;   in Loop: Header=BB10_58 Depth=2
	v_add_u32_e32 v11, 1, v3
	v_cmp_lt_i32_e32 vcc, s65, v3
	s_mov_b64 s[54:55], -1
	s_and_saveexec_b64 s[52:53], vcc
	s_cbranch_execz .LBB10_56
; %bb.60:                               ;   in Loop: Header=BB10_58 Depth=2
	s_trap 2
	ds_read_b64 v[0:1], v0
	s_waitcnt vmcnt(0) lgkmcnt(0)
	flat_load_dword v3, v[0:1] glc
	s_waitcnt vmcnt(0) lgkmcnt(0)
	buffer_invl2
	buffer_wbinvl1_vol
	v_cmp_ne_u32_e32 vcc, 0, v3
	s_and_saveexec_b64 s[56:57], vcc
	s_cbranch_execz .LBB10_55
; %bb.61:                               ;   in Loop: Header=BB10_58 Depth=2
	v_or_b32_e32 v54, 64, v54
	s_xor_b64 s[54:55], exec, -1
	ds_write_b32 v0, v3
	s_trap 2
	s_branch .LBB10_55
.LBB10_62:                              ;   in Loop: Header=BB10_49 Depth=1
	s_or_b64 exec, exec, s[46:47]
	v_and_b32_e32 v3, 12, v54
.LBB10_63:                              ;   in Loop: Header=BB10_49 Depth=1
	s_or_b64 exec, exec, s[44:45]
	v_cmp_eq_u32_e32 vcc, 0, v3
	s_orn2_b64 s[44:45], vcc, exec
	;;#ASMSTART
	s_wakeup
	;;#ASMEND
.LBB10_64:                              ;   in Loop: Header=BB10_49 Depth=1
	s_or_b64 exec, exec, s[22:23]
	s_xor_b64 s[22:23], s[44:45], -1
	v_min_u32_e32 v52, v52, v46
	s_and_saveexec_b64 s[44:45], s[22:23]
	s_cbranch_execz .LBB10_78
; %bb.65:                               ;   in Loop: Header=BB10_49 Depth=1
	v_accvgpr_read_b32 v4, a10
	v_and_b32_e32 v0, 0x108, v54
	v_accvgpr_read_b32 v6, a12
	v_cmp_ne_u32_e32 vcc, s66, v0
	v_and_b32_e32 v10, 7, v6
	v_accvgpr_read_b32 v5, a11
	v_accvgpr_read_b32 v7, a13
	s_and_saveexec_b64 s[22:23], vcc
	s_xor_b64 s[22:23], exec, s[22:23]
                                        ; implicit-def: $vgpr12_vgpr13
; %bb.66:                               ;   in Loop: Header=BB10_49 Depth=1
	v_mov_b32_e32 v13, v40
; %bb.67:                               ;   in Loop: Header=BB10_49 Depth=1
	s_andn2_saveexec_b64 s[22:23], s[22:23]
	s_cbranch_execz .LBB10_69
; %bb.68:                               ;   in Loop: Header=BB10_49 Depth=1
	v_accvgpr_read_b32 v4, a10
	v_accvgpr_read_b32 v5, a11
	v_mov_b32_e32 v13, v40
	v_mad_u64_u32 v[0:1], vcc, v10, 24, v[4:5]
	v_lshlrev_b32_e32 v4, 1, v52
	v_mov_b32_e32 v5, v40
	v_accvgpr_read_b32 v6, a12
	v_accvgpr_read_b32 v7, a13
	flat_store_dwordx2 v[0:1], v[4:5] offset:8
.LBB10_69:                              ;   in Loop: Header=BB10_49 Depth=1
	s_or_b64 exec, exec, s[22:23]
	v_and_b32_e32 v0, 0x100, v54
	v_cmp_ne_u32_e32 vcc, 0, v0
	s_mov_b64 s[22:23], -1
                                        ; implicit-def: $vgpr14_vgpr15
	s_and_saveexec_b64 s[46:47], vcc
	s_cbranch_execz .LBB10_73
; %bb.70:                               ;   in Loop: Header=BB10_49 Depth=1
	v_accvgpr_read_b32 v4, a10
	v_accvgpr_read_b32 v5, a11
	v_mad_u64_u32 v[16:17], s[22:23], v10, 24, v[4:5]
	v_mov_b32_e32 v0, v17
	v_mad_u64_u32 v[0:1], s[22:23], v13, 24, v[0:1]
	v_mov_b32_e32 v17, v0
	flat_load_dword v0, v[16:17]
	v_accvgpr_read_b32 v6, a12
	v_accvgpr_read_b32 v7, a13
                                        ; implicit-def: $vgpr14_vgpr15
	s_waitcnt vmcnt(0) lgkmcnt(0)
	v_cmp_ne_u32_e32 vcc, 1, v0
	v_cmp_eq_u32_e64 s[22:23], 1, v0
	s_and_saveexec_b64 s[48:49], s[22:23]
	s_cbranch_execz .LBB10_72
; %bb.71:                               ;   in Loop: Header=BB10_49 Depth=1
	flat_load_dword v0, v[16:17] offset:4 glc
	s_waitcnt vmcnt(0) lgkmcnt(0)
	v_ashrrev_i32_e32 v1, 31, v0
	v_lshrrev_b64 v[14:15], 1, v[0:1]
.LBB10_72:                              ;   in Loop: Header=BB10_49 Depth=1
	s_or_b64 exec, exec, s[48:49]
	s_orn2_b64 s[22:23], vcc, exec
.LBB10_73:                              ;   in Loop: Header=BB10_49 Depth=1
	s_or_b64 exec, exec, s[46:47]
	s_and_saveexec_b64 vcc, s[22:23]
; %bb.74:                               ;   in Loop: Header=BB10_49 Depth=1
	v_accvgpr_read_b32 v4, a14
	v_mul_lo_u32 v0, v13, v4
	v_mul_lo_u32 v1, v10, v9
	v_mad_u64_u32 v[14:15], s[22:23], v10, v4, 0
	v_add3_u32 v15, v15, v1, v0
; %bb.75:                               ;   in Loop: Header=BB10_49 Depth=1
	s_or_b64 exec, exec, vcc
	v_lshlrev_b64 v[0:1], 1, v[14:15]
	v_accvgpr_read_b32 v4, a16
	v_accvgpr_read_b32 v5, a17
	v_add_co_u32_e32 v0, vcc, v4, v0
	v_addc_co_u32_e32 v1, vcc, v5, v1, vcc
	s_trap 2
	ds_write_b64 v0, v[0:1]
	v_and_b32_e32 v0, 0x2000, v54
	v_cmp_ne_u32_e32 vcc, 0, v0
	s_and_saveexec_b64 s[22:23], vcc
	s_cbranch_execz .LBB10_77
; %bb.76:                               ;   in Loop: Header=BB10_49 Depth=1
	ds_read_b64 v[0:1], v0 offset:584
	s_waitcnt lgkmcnt(0)
	v_add_co_u32_e32 v0, vcc, 1, v0
	v_addc_co_u32_e32 v1, vcc, 0, v1, vcc
	ds_write_b64 v0, v[0:1] offset:584
.LBB10_77:                              ;   in Loop: Header=BB10_49 Depth=1
	s_or_b64 exec, exec, s[22:23]
	v_accvgpr_read_b32 v4, a10
	v_accvgpr_read_b32 v6, a12
	v_accvgpr_read_b32 v7, a13
	v_add_co_u32_e32 v6, vcc, 1, v6
	v_addc_co_u32_e32 v7, vcc, 0, v7, vcc
	v_accvgpr_read_b32 v5, a11
	v_accvgpr_write_b32 a13, v7
	v_accvgpr_write_b32 a12, v6
	;; [unrolled: 1-line block ×4, first 2 shown]
.LBB10_78:                              ;   in Loop: Header=BB10_49 Depth=1
	s_or_b64 exec, exec, s[44:45]
	s_and_saveexec_b64 s[22:23], s[12:13]
	s_cbranch_execz .LBB10_97
; %bb.79:                               ;   in Loop: Header=BB10_49 Depth=1
	s_and_saveexec_b64 vcc, s[34:35]
	s_xor_b64 s[44:45], exec, vcc
	s_cbranch_execz .LBB10_94
; %bb.80:                               ;   in Loop: Header=BB10_49 Depth=1
	s_and_saveexec_b64 s[46:47], s[14:15]
	s_cbranch_execz .LBB10_93
; %bb.81:                               ;   in Loop: Header=BB10_49 Depth=1
	s_mov_b64 s[50:51], exec
	v_mbcnt_lo_u32_b32 v0, s50, 0
	v_mbcnt_hi_u32_b32 v0, s51, v0
	v_cmp_eq_u32_e32 vcc, 0, v0
	s_waitcnt vmcnt(0) lgkmcnt(0)
	buffer_wbinvl1_vol
	s_and_saveexec_b64 s[48:49], vcc
	s_cbranch_execz .LBB10_83
; %bb.82:                               ;   in Loop: Header=BB10_49 Depth=1
	s_bcnt1_i32_b64 vcc_lo, s[50:51]
	v_mov_b32_e32 v0, vcc_lo
	v_mov_b32_e32 v1, v40
	ds_add_u64 v0, v[0:1]
	s_trap 2
.LBB10_83:                              ;   in Loop: Header=BB10_49 Depth=1
	s_or_b64 exec, exec, s[48:49]
	s_trap 2
	ds_read_b64 v[0:1], v0
	v_add_co_u32_e32 v38, vcc, v38, v30
	v_addc_co_u32_e32 v39, vcc, 0, v39, vcc
	s_waitcnt lgkmcnt(0)
	v_cmp_lt_u64_e32 vcc, v[0:1], v[38:39]
	s_and_saveexec_b64 s[48:49], vcc
	s_cbranch_execz .LBB10_92
; %bb.84:                               ;   in Loop: Header=BB10_49 Depth=1
	s_mov_b32 s60, 0
	s_mov_b64 s[50:51], 0
                                        ; implicit-def: $sgpr52_sgpr53
                                        ; implicit-def: $sgpr54_sgpr55
	s_branch .LBB10_86
.LBB10_85:                              ;   in Loop: Header=BB10_86 Depth=2
	s_or_b64 exec, exec, s[58:59]
	s_and_b64 vcc, exec, vcc
	s_or_b64 s[50:51], vcc, s[50:51]
	s_andn2_b64 vcc, s[52:53], exec
	s_and_b64 s[52:53], s[54:55], exec
	s_or_b64 s[52:53], vcc, s[52:53]
	s_andn2_b64 exec, exec, s[50:51]
	s_cbranch_execz .LBB10_90
.LBB10_86:                              ;   Parent Loop BB10_49 Depth=1
                                        ; =>  This Inner Loop Header: Depth=2
	s_add_i32 s60, s60, 1
	s_cmpk_lg_i32 s60, 0x2710
	s_cselect_b64 s[56:57], -1, 0
	s_and_b64 vcc, exec, s[56:57]
                                        ; implicit-def: $sgpr58_sgpr59
	s_cbranch_vccnz .LBB10_88
; %bb.87:                               ;   in Loop: Header=BB10_86 Depth=2
	s_trap 2
	ds_read_b64 v[0:1], v0
	s_andn2_b64 s[56:57], s[56:57], exec
	s_mov_b32 s60, 0
	s_mov_b64 s[58:59], -1
	s_waitcnt lgkmcnt(0)
	flat_load_dword v0, v[0:1] glc
	s_waitcnt vmcnt(0) lgkmcnt(0)
	buffer_invl2
	buffer_wbinvl1_vol
	v_cmp_eq_u32_e32 vcc, 0, v0
	s_and_b64 vcc, vcc, exec
	s_or_b64 s[56:57], s[56:57], vcc
.LBB10_88:                              ;   in Loop: Header=BB10_86 Depth=2
	s_andn2_b64 s[54:55], s[54:55], exec
	s_and_b64 s[58:59], s[58:59], exec
	s_mov_b64 vcc, -1
	s_or_b64 s[54:55], s[54:55], s[58:59]
	s_and_saveexec_b64 s[58:59], s[56:57]
	s_cbranch_execz .LBB10_85
; %bb.89:                               ;   in Loop: Header=BB10_86 Depth=2
	s_sleep 1
	s_trap 2
	ds_read_b64 v[0:1], v0
	s_andn2_b64 s[54:55], s[54:55], exec
	s_waitcnt lgkmcnt(0)
	v_cmp_ge_u64_e32 vcc, v[0:1], v[38:39]
	s_orn2_b64 vcc, vcc, exec
	s_branch .LBB10_85
.LBB10_90:                              ;   in Loop: Header=BB10_49 Depth=1
	s_or_b64 exec, exec, s[50:51]
	s_and_saveexec_b64 vcc, s[52:53]
	s_xor_b64 vcc, exec, vcc
	s_cbranch_execz .LBB10_92
; %bb.91:                               ;   in Loop: Header=BB10_49 Depth=1
	ds_write_b32 v0, v22
	s_trap 2
.LBB10_92:                              ;   in Loop: Header=BB10_49 Depth=1
	s_or_b64 exec, exec, s[48:49]
	;;#ASMSTART
	s_wakeup
	;;#ASMEND
.LBB10_93:                              ;   in Loop: Header=BB10_49 Depth=1
	s_or_b64 exec, exec, s[46:47]
.LBB10_94:                              ;   in Loop: Header=BB10_49 Depth=1
	s_andn2_saveexec_b64 vcc, s[44:45]
	s_cbranch_execz .LBB10_96
; %bb.95:                               ;   in Loop: Header=BB10_49 Depth=1
	s_waitcnt vmcnt(0) lgkmcnt(0)
	buffer_wbinvl1_vol
	s_barrier
.LBB10_96:                              ;   in Loop: Header=BB10_49 Depth=1
	s_or_b64 exec, exec, vcc
.LBB10_97:                              ;   in Loop: Header=BB10_49 Depth=1
	s_or_b64 exec, exec, s[22:23]
	s_trap 2
	ds_read_b32 v10, v0
	v_and_b32_e32 v0, 0x4000, v54
	v_cmp_ne_u32_e32 vcc, 0, v0
	s_and_b64 vcc, s[38:39], vcc
	s_and_saveexec_b64 s[22:23], vcc
	s_cbranch_execz .LBB10_116
; %bb.98:                               ;   in Loop: Header=BB10_49 Depth=1
	s_and_saveexec_b64 vcc, s[34:35]
	s_xor_b64 s[44:45], exec, vcc
	s_cbranch_execz .LBB10_113
; %bb.99:                               ;   in Loop: Header=BB10_49 Depth=1
	s_and_saveexec_b64 s[46:47], s[14:15]
	s_cbranch_execz .LBB10_112
; %bb.100:                              ;   in Loop: Header=BB10_49 Depth=1
	s_mov_b64 s[50:51], exec
	v_mbcnt_lo_u32_b32 v0, s50, 0
	v_mbcnt_hi_u32_b32 v0, s51, v0
	v_cmp_eq_u32_e32 vcc, 0, v0
	s_waitcnt vmcnt(0) lgkmcnt(0)
	buffer_wbinvl1_vol
	s_and_saveexec_b64 s[48:49], vcc
	s_cbranch_execz .LBB10_102
; %bb.101:                              ;   in Loop: Header=BB10_49 Depth=1
	s_bcnt1_i32_b64 vcc_lo, s[50:51]
	v_mov_b32_e32 v0, vcc_lo
	v_mov_b32_e32 v1, v40
	ds_add_u64 v0, v[0:1]
	s_trap 2
.LBB10_102:                             ;   in Loop: Header=BB10_49 Depth=1
	s_or_b64 exec, exec, s[48:49]
	s_trap 2
	ds_read_b64 v[0:1], v0
	v_add_co_u32_e32 v38, vcc, v38, v30
	v_addc_co_u32_e32 v39, vcc, 0, v39, vcc
	s_waitcnt lgkmcnt(0)
	v_cmp_lt_u64_e32 vcc, v[0:1], v[38:39]
	s_and_saveexec_b64 s[48:49], vcc
	s_cbranch_execz .LBB10_111
; %bb.103:                              ;   in Loop: Header=BB10_49 Depth=1
	s_mov_b32 s60, 0
	s_mov_b64 s[50:51], 0
                                        ; implicit-def: $sgpr52_sgpr53
                                        ; implicit-def: $sgpr54_sgpr55
	s_branch .LBB10_105
.LBB10_104:                             ;   in Loop: Header=BB10_105 Depth=2
	s_or_b64 exec, exec, s[58:59]
	s_and_b64 vcc, exec, vcc
	s_or_b64 s[50:51], vcc, s[50:51]
	s_andn2_b64 vcc, s[52:53], exec
	s_and_b64 s[52:53], s[54:55], exec
	s_or_b64 s[52:53], vcc, s[52:53]
	s_andn2_b64 exec, exec, s[50:51]
	s_cbranch_execz .LBB10_109
.LBB10_105:                             ;   Parent Loop BB10_49 Depth=1
                                        ; =>  This Inner Loop Header: Depth=2
	s_add_i32 s60, s60, 1
	s_cmpk_lg_i32 s60, 0x2710
	s_cselect_b64 s[56:57], -1, 0
	s_and_b64 vcc, exec, s[56:57]
                                        ; implicit-def: $sgpr58_sgpr59
	s_cbranch_vccnz .LBB10_107
; %bb.106:                              ;   in Loop: Header=BB10_105 Depth=2
	s_trap 2
	ds_read_b64 v[0:1], v0
	s_andn2_b64 s[56:57], s[56:57], exec
	s_mov_b32 s60, 0
	s_mov_b64 s[58:59], -1
	s_waitcnt lgkmcnt(0)
	flat_load_dword v0, v[0:1] glc
	s_waitcnt vmcnt(0) lgkmcnt(0)
	buffer_invl2
	buffer_wbinvl1_vol
	v_cmp_eq_u32_e32 vcc, 0, v0
	s_and_b64 vcc, vcc, exec
	s_or_b64 s[56:57], s[56:57], vcc
.LBB10_107:                             ;   in Loop: Header=BB10_105 Depth=2
	s_andn2_b64 s[54:55], s[54:55], exec
	s_and_b64 s[58:59], s[58:59], exec
	s_mov_b64 vcc, -1
	s_or_b64 s[54:55], s[54:55], s[58:59]
	s_and_saveexec_b64 s[58:59], s[56:57]
	s_cbranch_execz .LBB10_104
; %bb.108:                              ;   in Loop: Header=BB10_105 Depth=2
	s_sleep 1
	s_trap 2
	ds_read_b64 v[0:1], v0
	s_andn2_b64 s[54:55], s[54:55], exec
	s_waitcnt lgkmcnt(0)
	v_cmp_ge_u64_e32 vcc, v[0:1], v[38:39]
	s_orn2_b64 vcc, vcc, exec
	s_branch .LBB10_104
.LBB10_109:                             ;   in Loop: Header=BB10_49 Depth=1
	s_or_b64 exec, exec, s[50:51]
	s_and_saveexec_b64 vcc, s[52:53]
	s_xor_b64 vcc, exec, vcc
	s_cbranch_execz .LBB10_111
; %bb.110:                              ;   in Loop: Header=BB10_49 Depth=1
	ds_write_b32 v0, v22
	s_trap 2
.LBB10_111:                             ;   in Loop: Header=BB10_49 Depth=1
	s_or_b64 exec, exec, s[48:49]
	;;#ASMSTART
	s_wakeup
	;;#ASMEND
.LBB10_112:                             ;   in Loop: Header=BB10_49 Depth=1
	s_or_b64 exec, exec, s[46:47]
.LBB10_113:                             ;   in Loop: Header=BB10_49 Depth=1
	s_andn2_saveexec_b64 vcc, s[44:45]
	s_cbranch_execz .LBB10_115
; %bb.114:                              ;   in Loop: Header=BB10_49 Depth=1
	s_waitcnt vmcnt(0) lgkmcnt(0)
	buffer_wbinvl1_vol
	s_barrier
.LBB10_115:                             ;   in Loop: Header=BB10_49 Depth=1
	s_or_b64 exec, exec, vcc
.LBB10_116:                             ;   in Loop: Header=BB10_49 Depth=1
	s_or_b64 exec, exec, s[22:23]
	s_trap 2
	ds_read_b64 v[0:1], v0
	s_waitcnt lgkmcnt(0)
	v_readfirstlane_b32 s22, v0
	v_readfirstlane_b32 s23, v1
	s_cmp_eq_u64 s[22:23], 0
	s_cselect_b64 s[22:23], -1, 0
	s_or_b64 vcc, s[22:23], s[22:23]
	s_mov_b64 s[22:23], 0
	s_and_b64 vcc, exec, vcc
	s_cbranch_vccnz .LBB10_277
; %bb.117:                              ;   in Loop: Header=BB10_49 Depth=1
	s_mov_b64 s[22:23], -1
	s_and_saveexec_b64 s[44:45], s[16:17]
	s_cbranch_execz .LBB10_119
; %bb.118:                              ;   in Loop: Header=BB10_49 Depth=1
	ds_read_b32 v0, v0 offset:720
	s_waitcnt lgkmcnt(0)
	v_and_b32_e32 v0, 15, v0
	v_cmp_eq_u32_e32 vcc, 0, v0
	s_orn2_b64 s[22:23], vcc, exec
.LBB10_119:                             ;   in Loop: Header=BB10_49 Depth=1
	s_or_b64 exec, exec, s[44:45]
	s_and_saveexec_b64 s[44:45], s[18:19]
	s_cbranch_execz .LBB10_121
; %bb.120:                              ;   in Loop: Header=BB10_49 Depth=1
	ds_read_b32 v0, v0 offset:784
	s_waitcnt lgkmcnt(0)
	v_and_b32_e32 v0, 15, v0
	v_cmp_eq_u32_e32 vcc, 0, v0
	s_and_b64 vcc, s[22:23], vcc
	s_andn2_b64 s[22:23], s[22:23], exec
	s_and_b64 vcc, vcc, exec
	s_or_b64 s[22:23], s[22:23], vcc
.LBB10_121:                             ;   in Loop: Header=BB10_49 Depth=1
	s_or_b64 exec, exec, s[44:45]
	v_cmp_eq_u32_e32 vcc, 0, v10
	s_xor_b64 s[22:23], s[22:23], -1
	v_cndmask_b32_e32 v53, 0, v52, vcc
	v_cndmask_b32_e64 v0, 0, 1, s[22:23]
	v_mov_b32_e32 v3, 0
	v_lshlrev_b32_e32 v41, 1, v53
	s_mov_b64 s[46:47], -1
	;;#ASMSTART
	;;#ASMEND
	v_cmp_ne_u32_e32 vcc, 0, v0
	s_cbranch_vccz .LBB10_123
; %bb.122:                              ;   in Loop: Header=BB10_49 Depth=1
	v_mov_b32_e32 v18, v58
	v_mov_b32_e32 v10, v59
	s_and_saveexec_b64 s[22:23], s[46:47]
	s_cbranch_execnz .LBB10_232
	s_branch .LBB10_276
.LBB10_123:                             ;   in Loop: Header=BB10_49 Depth=1
	v_lshrrev_b32_e32 v0, 10, v53
	v_sub_u32_e32 v47, v0, v59
	v_cmp_lt_i32_e32 vcc, 0, v47
	s_and_saveexec_b64 s[22:23], vcc
	s_cbranch_execz .LBB10_191
; %bb.124:                              ;   in Loop: Header=BB10_49 Depth=1
	v_accvgpr_write_b32 a24, v0
	s_trap 2
	ds_read_b128 v[4:7], v0
	ds_read_b64 v[0:1], v0
	v_accvgpr_read_b32 v8, a20
	v_accvgpr_read_b32 v3, a9
	s_mov_b64 s[44:45], 0
	s_waitcnt lgkmcnt(0)
	v_add_co_u32_e32 v56, vcc, v4, v8
	v_addc_co_u32_e32 v57, vcc, v5, v3, vcc
	v_add_co_u32_e32 v58, vcc, v6, v8
	v_addc_co_u32_e32 v59, vcc, v7, v3, vcc
	v_add_co_u32_e32 v60, vcc, v0, v8
	v_addc_co_u32_e32 v61, vcc, v1, v3, vcc
	s_branch .LBB10_126
.LBB10_125:                             ;   in Loop: Header=BB10_126 Depth=2
	s_or_b64 exec, exec, s[46:47]
	v_lshrrev_b32_e32 v0, 16, v29
	v_and_or_b32 v5, v23, s69, v0
	v_lshrrev_b32_e32 v0, 16, v28
	v_and_or_b32 v4, v22, s69, v0
	;; [unrolled: 2-line block ×3, first 2 shown]
	v_lshrrev_b32_e32 v0, 16, v24
	v_add_co_u32_e32 v56, vcc, v56, v27
	v_and_or_b32 v7, v21, s69, v0
	v_lshrrev_b32_e32 v0, 16, v18
	v_addc_co_u32_e32 v57, vcc, v57, v55, vcc
	v_and_or_b32 v9, v15, s69, v0
	v_lshrrev_b32_e32 v0, 16, v25
	v_add_co_u32_e32 v58, vcc, v58, v27
	v_and_or_b32 v8, v14, s69, v0
	v_lshrrev_b32_e32 v0, 16, v19
	v_addc_co_u32_e32 v59, vcc, v59, v55, vcc
	v_sub_u32_e32 v47, v47, v30
	v_and_or_b32 v10, v12, s69, v0
	v_lshrrev_b32_e32 v0, 16, v16
	v_cmp_gt_i32_e32 vcc, 1, v47
	v_and_or_b32 v11, v3, s69, v0
	global_store_dwordx4 v[60:61], v[4:7], off glc slc
	global_store_dwordx4 v[60:61], v[8:11], off offset:1024 glc slc
	s_or_b64 s[44:45], vcc, s[44:45]
	v_add_co_u32_e32 v60, vcc, v60, v27
	v_addc_co_u32_e32 v61, vcc, v61, v55, vcc
	s_andn2_b64 exec, exec, s[44:45]
	s_cbranch_execz .LBB10_190
.LBB10_126:                             ;   Parent Loop BB10_49 Depth=1
                                        ; =>  This Inner Loop Header: Depth=2
	global_load_dwordx4 v[18:21], v[58:59], off glc slc
	global_load_dwordx4 v[22:25], v[56:57], off glc slc
	global_load_dwordx4 v[14:17], v[56:57], off offset:1024 glc slc
	global_load_dwordx4 v[10:13], v[58:59], off offset:1024 glc slc
                                        ; implicit-def: $vgpr28
	s_waitcnt vmcnt(0)
	v_lshlrev_b32_e32 v0, 16, v18
	v_lshlrev_b32_e32 v4, 16, v22
	v_pk_add_f32 v[42:43], v[0:1], v[4:5] op_sel_hi:[0,1]
	v_and_b32_e32 v0, 0x7f800000, v42
	v_cmp_ne_u32_e32 vcc, s67, v0
	s_and_saveexec_b64 s[46:47], vcc
	s_xor_b64 vcc, exec, s[46:47]
; %bb.127:                              ;   in Loop: Header=BB10_126 Depth=2
	v_bfe_u32 v0, v42, 16, 1
	v_add3_u32 v28, v42, v0, s68
                                        ; implicit-def: $vgpr42_vgpr43
; %bb.128:                              ;   in Loop: Header=BB10_126 Depth=2
	s_andn2_saveexec_b64 s[46:47], vcc
; %bb.129:                              ;   in Loop: Header=BB10_126 Depth=2
	v_or_b32_e32 v0, 0x10000, v42
	v_cmp_eq_u32_sdwa vcc, v42, v40 src0_sel:WORD_0 src1_sel:DWORD
	v_cndmask_b32_e32 v28, v0, v42, vcc
; %bb.130:                              ;   in Loop: Header=BB10_126 Depth=2
	s_or_b64 exec, exec, s[46:47]
	v_and_b32_e32 v0, 0xffff0000, v18
	v_and_b32_e32 v4, 0xffff0000, v22
	v_pk_add_f32 v[42:43], v[0:1], v[4:5] op_sel_hi:[0,1]
	v_and_b32_e32 v0, 0x7f800000, v42
	v_cmp_ne_u32_e32 vcc, s67, v0
                                        ; implicit-def: $vgpr22
	s_and_saveexec_b64 s[46:47], vcc
	s_xor_b64 vcc, exec, s[46:47]
; %bb.131:                              ;   in Loop: Header=BB10_126 Depth=2
	v_bfe_u32 v0, v42, 16, 1
	v_add3_u32 v22, v42, v0, s68
                                        ; implicit-def: $vgpr42_vgpr43
; %bb.132:                              ;   in Loop: Header=BB10_126 Depth=2
	s_andn2_saveexec_b64 s[46:47], vcc
; %bb.133:                              ;   in Loop: Header=BB10_126 Depth=2
	v_or_b32_e32 v0, 0x10000, v42
	v_cmp_eq_u32_sdwa vcc, v42, v40 src0_sel:WORD_0 src1_sel:DWORD
	v_cndmask_b32_e32 v22, v0, v42, vcc
; %bb.134:                              ;   in Loop: Header=BB10_126 Depth=2
	s_or_b64 exec, exec, s[46:47]
	v_mov_b32_e32 v3, v19
	v_lshlrev_b32_e32 v0, 16, v3
	v_lshlrev_b32_e32 v4, 16, v23
	v_pk_add_f32 v[18:19], v[0:1], v[4:5] op_sel_hi:[0,1]
	v_and_b32_e32 v0, 0x7f800000, v18
	v_cmp_ne_u32_e32 vcc, s67, v0
                                        ; implicit-def: $vgpr29
	s_and_saveexec_b64 s[46:47], vcc
	s_xor_b64 vcc, exec, s[46:47]
; %bb.135:                              ;   in Loop: Header=BB10_126 Depth=2
	v_bfe_u32 v0, v18, 16, 1
	v_add3_u32 v29, v18, v0, s68
                                        ; implicit-def: $vgpr18_vgpr19
; %bb.136:                              ;   in Loop: Header=BB10_126 Depth=2
	s_andn2_saveexec_b64 s[46:47], vcc
; %bb.137:                              ;   in Loop: Header=BB10_126 Depth=2
	v_or_b32_e32 v0, 0x10000, v18
	v_cmp_eq_u32_sdwa vcc, v18, v40 src0_sel:WORD_0 src1_sel:DWORD
	v_cndmask_b32_e32 v29, v0, v18, vcc
; %bb.138:                              ;   in Loop: Header=BB10_126 Depth=2
	s_or_b64 exec, exec, s[46:47]
	v_and_b32_e32 v0, 0xffff0000, v3
	v_and_b32_e32 v4, 0xffff0000, v23
	v_pk_add_f32 v[18:19], v[0:1], v[4:5] op_sel_hi:[0,1]
	v_and_b32_e32 v0, 0x7f800000, v18
	v_cmp_ne_u32_e32 vcc, s67, v0
                                        ; implicit-def: $vgpr23
	s_and_saveexec_b64 s[46:47], vcc
	s_xor_b64 vcc, exec, s[46:47]
; %bb.139:                              ;   in Loop: Header=BB10_126 Depth=2
	v_bfe_u32 v0, v18, 16, 1
	v_add3_u32 v23, v18, v0, s68
                                        ; implicit-def: $vgpr18_vgpr19
; %bb.140:                              ;   in Loop: Header=BB10_126 Depth=2
	s_andn2_saveexec_b64 s[46:47], vcc
; %bb.141:                              ;   in Loop: Header=BB10_126 Depth=2
	v_or_b32_e32 v0, 0x10000, v18
	v_cmp_eq_u32_sdwa vcc, v18, v40 src0_sel:WORD_0 src1_sel:DWORD
	v_cndmask_b32_e32 v23, v0, v18, vcc
; %bb.142:                              ;   in Loop: Header=BB10_126 Depth=2
	s_or_b64 exec, exec, s[46:47]
	v_lshlrev_b32_e32 v0, 16, v20
	v_lshlrev_b32_e32 v4, 16, v24
	v_pk_add_f32 v[18:19], v[0:1], v[4:5] op_sel_hi:[0,1]
	v_and_b32_e32 v0, 0x7f800000, v18
	v_cmp_ne_u32_e32 vcc, s67, v0
                                        ; implicit-def: $vgpr42
	s_and_saveexec_b64 s[46:47], vcc
	s_xor_b64 vcc, exec, s[46:47]
; %bb.143:                              ;   in Loop: Header=BB10_126 Depth=2
	v_bfe_u32 v0, v18, 16, 1
	v_add3_u32 v42, v18, v0, s68
                                        ; implicit-def: $vgpr18_vgpr19
; %bb.144:                              ;   in Loop: Header=BB10_126 Depth=2
	s_andn2_saveexec_b64 s[46:47], vcc
; %bb.145:                              ;   in Loop: Header=BB10_126 Depth=2
	v_or_b32_e32 v0, 0x10000, v18
	v_cmp_eq_u32_sdwa vcc, v18, v40 src0_sel:WORD_0 src1_sel:DWORD
	v_cndmask_b32_e32 v42, v0, v18, vcc
; %bb.146:                              ;   in Loop: Header=BB10_126 Depth=2
	s_or_b64 exec, exec, s[46:47]
	v_and_b32_e32 v0, 0xffff0000, v20
	v_and_b32_e32 v4, 0xffff0000, v24
	v_pk_add_f32 v[18:19], v[0:1], v[4:5] op_sel_hi:[0,1]
	v_and_b32_e32 v0, 0x7f800000, v18
	v_cmp_ne_u32_e32 vcc, s67, v0
                                        ; implicit-def: $vgpr20
	s_and_saveexec_b64 s[46:47], vcc
	s_xor_b64 vcc, exec, s[46:47]
; %bb.147:                              ;   in Loop: Header=BB10_126 Depth=2
	v_bfe_u32 v0, v18, 16, 1
	v_add3_u32 v20, v18, v0, s68
                                        ; implicit-def: $vgpr18_vgpr19
; %bb.148:                              ;   in Loop: Header=BB10_126 Depth=2
	s_andn2_saveexec_b64 s[46:47], vcc
; %bb.149:                              ;   in Loop: Header=BB10_126 Depth=2
	v_or_b32_e32 v0, 0x10000, v18
	v_cmp_eq_u32_sdwa vcc, v18, v40 src0_sel:WORD_0 src1_sel:DWORD
	v_cndmask_b32_e32 v20, v0, v18, vcc
; %bb.150:                              ;   in Loop: Header=BB10_126 Depth=2
	s_or_b64 exec, exec, s[46:47]
	v_mov_b32_e32 v3, v25
	v_lshlrev_b32_e32 v0, 16, v21
	v_lshlrev_b32_e32 v4, 16, v3
	v_pk_add_f32 v[18:19], v[0:1], v[4:5] op_sel_hi:[0,1]
	v_and_b32_e32 v0, 0x7f800000, v18
	v_cmp_ne_u32_e32 vcc, s67, v0
                                        ; implicit-def: $vgpr24
	s_and_saveexec_b64 s[46:47], vcc
	s_xor_b64 vcc, exec, s[46:47]
; %bb.151:                              ;   in Loop: Header=BB10_126 Depth=2
	v_bfe_u32 v0, v18, 16, 1
	v_add3_u32 v24, v18, v0, s68
                                        ; implicit-def: $vgpr18_vgpr19
; %bb.152:                              ;   in Loop: Header=BB10_126 Depth=2
	s_andn2_saveexec_b64 s[46:47], vcc
; %bb.153:                              ;   in Loop: Header=BB10_126 Depth=2
	v_or_b32_e32 v0, 0x10000, v18
	v_cmp_eq_u32_sdwa vcc, v18, v40 src0_sel:WORD_0 src1_sel:DWORD
	v_cndmask_b32_e32 v24, v0, v18, vcc
; %bb.154:                              ;   in Loop: Header=BB10_126 Depth=2
	s_or_b64 exec, exec, s[46:47]
	v_and_b32_e32 v0, 0xffff0000, v21
	v_and_b32_e32 v4, 0xffff0000, v3
	v_pk_add_f32 v[18:19], v[0:1], v[4:5] op_sel_hi:[0,1]
	v_and_b32_e32 v0, 0x7f800000, v18
	v_cmp_ne_u32_e32 vcc, s67, v0
                                        ; implicit-def: $vgpr21
	s_and_saveexec_b64 s[46:47], vcc
	s_xor_b64 vcc, exec, s[46:47]
; %bb.155:                              ;   in Loop: Header=BB10_126 Depth=2
	v_bfe_u32 v0, v18, 16, 1
	v_add3_u32 v21, v18, v0, s68
                                        ; implicit-def: $vgpr18_vgpr19
; %bb.156:                              ;   in Loop: Header=BB10_126 Depth=2
	s_andn2_saveexec_b64 s[46:47], vcc
; %bb.157:                              ;   in Loop: Header=BB10_126 Depth=2
	v_or_b32_e32 v0, 0x10000, v18
	v_cmp_eq_u32_sdwa vcc, v18, v40 src0_sel:WORD_0 src1_sel:DWORD
	v_cndmask_b32_e32 v21, v0, v18, vcc
; %bb.158:                              ;   in Loop: Header=BB10_126 Depth=2
	s_or_b64 exec, exec, s[46:47]
	v_lshlrev_b32_e32 v0, 16, v10
	v_lshlrev_b32_e32 v4, 16, v14
	v_pk_add_f32 v[18:19], v[0:1], v[4:5] op_sel_hi:[0,1]
	v_and_b32_e32 v0, 0x7f800000, v18
	v_cmp_ne_u32_e32 vcc, s67, v0
                                        ; implicit-def: $vgpr25
	s_and_saveexec_b64 s[46:47], vcc
	s_xor_b64 vcc, exec, s[46:47]
; %bb.159:                              ;   in Loop: Header=BB10_126 Depth=2
	v_bfe_u32 v0, v18, 16, 1
	v_add3_u32 v25, v18, v0, s68
                                        ; implicit-def: $vgpr18_vgpr19
; %bb.160:                              ;   in Loop: Header=BB10_126 Depth=2
	s_andn2_saveexec_b64 s[46:47], vcc
; %bb.161:                              ;   in Loop: Header=BB10_126 Depth=2
	v_or_b32_e32 v0, 0x10000, v18
	v_cmp_eq_u32_sdwa vcc, v18, v40 src0_sel:WORD_0 src1_sel:DWORD
	v_cndmask_b32_e32 v25, v0, v18, vcc
; %bb.162:                              ;   in Loop: Header=BB10_126 Depth=2
	s_or_b64 exec, exec, s[46:47]
	v_and_b32_e32 v0, 0xffff0000, v10
	v_and_b32_e32 v4, 0xffff0000, v14
	v_pk_add_f32 v[18:19], v[0:1], v[4:5] op_sel_hi:[0,1]
	v_and_b32_e32 v0, 0x7f800000, v18
	v_cmp_ne_u32_e32 vcc, s67, v0
                                        ; implicit-def: $vgpr14
	s_and_saveexec_b64 s[46:47], vcc
	s_xor_b64 vcc, exec, s[46:47]
; %bb.163:                              ;   in Loop: Header=BB10_126 Depth=2
	v_bfe_u32 v0, v18, 16, 1
	v_add3_u32 v14, v18, v0, s68
                                        ; implicit-def: $vgpr18_vgpr19
; %bb.164:                              ;   in Loop: Header=BB10_126 Depth=2
	s_andn2_saveexec_b64 s[46:47], vcc
; %bb.165:                              ;   in Loop: Header=BB10_126 Depth=2
	v_or_b32_e32 v0, 0x10000, v18
	v_cmp_eq_u32_sdwa vcc, v18, v40 src0_sel:WORD_0 src1_sel:DWORD
	v_cndmask_b32_e32 v14, v0, v18, vcc
; %bb.166:                              ;   in Loop: Header=BB10_126 Depth=2
	s_or_b64 exec, exec, s[46:47]
	v_mov_b32_e32 v3, v11
	v_lshlrev_b32_e32 v0, 16, v3
	v_lshlrev_b32_e32 v4, 16, v15
	v_pk_add_f32 v[10:11], v[0:1], v[4:5] op_sel_hi:[0,1]
	v_and_b32_e32 v0, 0x7f800000, v10
	v_cmp_ne_u32_e32 vcc, s67, v0
                                        ; implicit-def: $vgpr18
	s_and_saveexec_b64 s[46:47], vcc
	s_xor_b64 vcc, exec, s[46:47]
; %bb.167:                              ;   in Loop: Header=BB10_126 Depth=2
	v_bfe_u32 v0, v10, 16, 1
	v_add3_u32 v18, v10, v0, s68
                                        ; implicit-def: $vgpr10_vgpr11
; %bb.168:                              ;   in Loop: Header=BB10_126 Depth=2
	s_andn2_saveexec_b64 s[46:47], vcc
; %bb.169:                              ;   in Loop: Header=BB10_126 Depth=2
	v_or_b32_e32 v0, 0x10000, v10
	v_cmp_eq_u32_sdwa vcc, v10, v40 src0_sel:WORD_0 src1_sel:DWORD
	v_cndmask_b32_e32 v18, v0, v10, vcc
; %bb.170:                              ;   in Loop: Header=BB10_126 Depth=2
	s_or_b64 exec, exec, s[46:47]
	v_and_b32_e32 v0, 0xffff0000, v3
	v_and_b32_e32 v4, 0xffff0000, v15
	v_pk_add_f32 v[10:11], v[0:1], v[4:5] op_sel_hi:[0,1]
	v_and_b32_e32 v0, 0x7f800000, v10
	v_cmp_ne_u32_e32 vcc, s67, v0
                                        ; implicit-def: $vgpr15
	s_and_saveexec_b64 s[46:47], vcc
	s_xor_b64 vcc, exec, s[46:47]
; %bb.171:                              ;   in Loop: Header=BB10_126 Depth=2
	v_bfe_u32 v0, v10, 16, 1
	v_add3_u32 v15, v10, v0, s68
                                        ; implicit-def: $vgpr10_vgpr11
; %bb.172:                              ;   in Loop: Header=BB10_126 Depth=2
	s_andn2_saveexec_b64 s[46:47], vcc
; %bb.173:                              ;   in Loop: Header=BB10_126 Depth=2
	v_or_b32_e32 v0, 0x10000, v10
	v_cmp_eq_u32_sdwa vcc, v10, v40 src0_sel:WORD_0 src1_sel:DWORD
	v_cndmask_b32_e32 v15, v0, v10, vcc
; %bb.174:                              ;   in Loop: Header=BB10_126 Depth=2
	s_or_b64 exec, exec, s[46:47]
	v_lshlrev_b32_e32 v0, 16, v12
	v_lshlrev_b32_e32 v4, 16, v16
	v_pk_add_f32 v[10:11], v[0:1], v[4:5] op_sel_hi:[0,1]
	v_and_b32_e32 v0, 0x7f800000, v10
	v_cmp_ne_u32_e32 vcc, s67, v0
                                        ; implicit-def: $vgpr19
	s_and_saveexec_b64 s[46:47], vcc
	s_xor_b64 vcc, exec, s[46:47]
; %bb.175:                              ;   in Loop: Header=BB10_126 Depth=2
	v_bfe_u32 v0, v10, 16, 1
	v_add3_u32 v19, v10, v0, s68
                                        ; implicit-def: $vgpr10_vgpr11
; %bb.176:                              ;   in Loop: Header=BB10_126 Depth=2
	s_andn2_saveexec_b64 s[46:47], vcc
; %bb.177:                              ;   in Loop: Header=BB10_126 Depth=2
	v_or_b32_e32 v0, 0x10000, v10
	v_cmp_eq_u32_sdwa vcc, v10, v40 src0_sel:WORD_0 src1_sel:DWORD
	v_cndmask_b32_e32 v19, v0, v10, vcc
; %bb.178:                              ;   in Loop: Header=BB10_126 Depth=2
	s_or_b64 exec, exec, s[46:47]
	v_and_b32_e32 v0, 0xffff0000, v12
	v_and_b32_e32 v4, 0xffff0000, v16
	v_pk_add_f32 v[10:11], v[0:1], v[4:5] op_sel_hi:[0,1]
	v_and_b32_e32 v0, 0x7f800000, v10
	v_cmp_ne_u32_e32 vcc, s67, v0
                                        ; implicit-def: $vgpr12
	s_and_saveexec_b64 s[46:47], vcc
	s_xor_b64 vcc, exec, s[46:47]
; %bb.179:                              ;   in Loop: Header=BB10_126 Depth=2
	v_bfe_u32 v0, v10, 16, 1
	v_add3_u32 v12, v10, v0, s68
                                        ; implicit-def: $vgpr10_vgpr11
; %bb.180:                              ;   in Loop: Header=BB10_126 Depth=2
	s_andn2_saveexec_b64 s[46:47], vcc
; %bb.181:                              ;   in Loop: Header=BB10_126 Depth=2
	v_or_b32_e32 v0, 0x10000, v10
	v_cmp_eq_u32_sdwa vcc, v10, v40 src0_sel:WORD_0 src1_sel:DWORD
	v_cndmask_b32_e32 v12, v0, v10, vcc
; %bb.182:                              ;   in Loop: Header=BB10_126 Depth=2
	s_or_b64 exec, exec, s[46:47]
	v_mov_b32_e32 v3, v17
	v_lshlrev_b32_e32 v0, 16, v13
	v_lshlrev_b32_e32 v4, 16, v3
	v_pk_add_f32 v[10:11], v[0:1], v[4:5] op_sel_hi:[0,1]
	v_and_b32_e32 v0, 0x7f800000, v10
	v_cmp_ne_u32_e32 vcc, s67, v0
                                        ; implicit-def: $vgpr16
	s_and_saveexec_b64 s[46:47], vcc
	s_xor_b64 vcc, exec, s[46:47]
; %bb.183:                              ;   in Loop: Header=BB10_126 Depth=2
	v_bfe_u32 v0, v10, 16, 1
	v_add3_u32 v16, v10, v0, s68
                                        ; implicit-def: $vgpr10_vgpr11
; %bb.184:                              ;   in Loop: Header=BB10_126 Depth=2
	s_andn2_saveexec_b64 s[46:47], vcc
; %bb.185:                              ;   in Loop: Header=BB10_126 Depth=2
	v_or_b32_e32 v0, 0x10000, v10
	v_cmp_eq_u32_sdwa vcc, v10, v40 src0_sel:WORD_0 src1_sel:DWORD
	v_cndmask_b32_e32 v16, v0, v10, vcc
; %bb.186:                              ;   in Loop: Header=BB10_126 Depth=2
	s_or_b64 exec, exec, s[46:47]
	v_and_b32_e32 v0, 0xffff0000, v13
	v_and_b32_e32 v4, 0xffff0000, v3
	v_pk_add_f32 v[10:11], v[0:1], v[4:5] op_sel_hi:[0,1]
	v_and_b32_e32 v0, 0x7f800000, v10
	v_cmp_ne_u32_e32 vcc, s67, v0
                                        ; implicit-def: $vgpr3
	s_and_saveexec_b64 s[46:47], vcc
	s_xor_b64 vcc, exec, s[46:47]
; %bb.187:                              ;   in Loop: Header=BB10_126 Depth=2
	v_bfe_u32 v0, v10, 16, 1
	v_add3_u32 v3, v10, v0, s68
                                        ; implicit-def: $vgpr10_vgpr11
; %bb.188:                              ;   in Loop: Header=BB10_126 Depth=2
	s_andn2_saveexec_b64 s[46:47], vcc
	s_cbranch_execz .LBB10_125
; %bb.189:                              ;   in Loop: Header=BB10_126 Depth=2
	v_or_b32_e32 v0, 0x10000, v10
	v_cmp_eq_u32_sdwa vcc, v10, v40 src0_sel:WORD_0 src1_sel:DWORD
	v_cndmask_b32_e32 v3, v0, v10, vcc
	s_branch .LBB10_125
.LBB10_190:                             ;   in Loop: Header=BB10_49 Depth=1
	s_or_b64 exec, exec, s[44:45]
	v_mov_b32_e32 v58, v51
	v_accvgpr_read_b32 v9, a5
	v_accvgpr_read_b32 v59, a8
	;; [unrolled: 1-line block ×3, first 2 shown]
	v_mov_b32_e32 v22, 1
	v_accvgpr_read_b32 v0, a24
.LBB10_191:                             ;   in Loop: Header=BB10_49 Depth=1
	s_or_b64 exec, exec, s[22:23]
	v_lshlrev_b32_e32 v28, 11, v0
	v_cmp_ne_u32_e32 vcc, v41, v28
	s_mov_b64 s[46:47], 0
	v_mov_b32_e32 v3, 0
                                        ; implicit-def: $vgpr18
                                        ; implicit-def: $vgpr10
	s_and_saveexec_b64 s[44:45], vcc
	s_cbranch_execz .LBB10_231
; %bb.192:                              ;   in Loop: Header=BB10_49 Depth=1
	v_lshlrev_b32_e32 v1, 6, v47
	v_accvgpr_read_b32 v3, a4
	v_sub_u32_e32 v1, v3, v1
	v_ashrrev_i32_e32 v3, 31, v1
	v_lshrrev_b32_e32 v3, 26, v3
	v_add_u32_e32 v3, v1, v3
	v_ashrrev_i32_e32 v4, 6, v3
	v_and_b32_e32 v3, 0xffffffc0, v3
	v_sub_u32_e32 v29, v1, v3
	v_sub_u32_e32 v0, v41, v28
	v_lshlrev_b32_e32 v1, 4, v29
	v_lshl_add_u32 v3, v4, 10, v1
	v_ashrrev_i32_e32 v1, 31, v0
	v_lshrrev_b32_e32 v1, 22, v1
	v_add_u32_e32 v1, v0, v1
	v_and_b32_e32 v42, 0xfffffc00, v1
	v_sub_u32_e32 v47, v0, v42
	v_ashrrev_i32_e32 v5, 10, v1
	v_cmp_lt_i32_e32 vcc, 15, v47
	v_sub_u32_e32 v56, v0, v3
	v_addc_co_u32_e64 v0, s[22:23], 0, v5, vcc
	v_sub_u32_e32 v43, v0, v4
	v_cmp_lt_i32_e64 s[22:23], 15, v56
	s_and_saveexec_b64 s[46:47], s[22:23]
	s_cbranch_execz .LBB10_228
; %bb.193:                              ;   in Loop: Header=BB10_49 Depth=1
	s_trap 2
	ds_read_b128 v[4:7], v0
	v_add_u32_e32 v3, v3, v28
	ds_read_b64 v[0:1], v0
	v_ashrrev_i32_e32 v8, 31, v3
	s_mov_b64 s[48:49], 0
	s_waitcnt lgkmcnt(0)
	v_add_co_u32_e64 v18, s[22:23], v4, v3
	v_addc_co_u32_e64 v19, s[22:23], v5, v8, s[22:23]
	v_add_co_u32_e64 v20, s[22:23], v6, v3
	v_addc_co_u32_e64 v21, s[22:23], v7, v8, s[22:23]
	v_add_co_u32_e64 v22, s[22:23], v0, v3
	v_addc_co_u32_e64 v23, s[22:23], v1, v8, s[22:23]
	v_accvgpr_read_b32 v1, a15
	s_branch .LBB10_195
.LBB10_194:                             ;   in Loop: Header=BB10_195 Depth=2
	s_or_b64 exec, exec, s[50:51]
	v_lshrrev_b32_e32 v0, 16, v24
	v_and_or_b32 v5, v15, s69, v0
	v_lshrrev_b32_e32 v0, 16, v57
	v_add_co_u32_e64 v18, s[22:23], v18, v26
	v_and_or_b32 v4, v14, s69, v0
	v_lshrrev_b32_e32 v0, 16, v25
	v_addc_co_u32_e64 v19, s[22:23], v19, v62, s[22:23]
	v_and_or_b32 v6, v12, s69, v0
	v_lshrrev_b32_e32 v0, 16, v16
	v_add_co_u32_e64 v20, s[22:23], v20, v26
	v_and_or_b32 v7, v3, s69, v0
	v_addc_co_u32_e64 v21, s[22:23], v21, v62, s[22:23]
	global_store_dwordx4 v[22:23], v[4:7], off glc slc
	v_add_co_u32_e64 v22, s[22:23], v22, v26
	v_addc_co_u32_e64 v23, s[22:23], v23, v62, s[22:23]
	v_sub_u32_e32 v56, v56, v1
	v_cmp_gt_i32_e64 s[22:23], 16, v56
	s_or_b64 s[48:49], s[22:23], s[48:49]
	v_sub_u32_e32 v43, v43, v30
	s_andn2_b64 exec, exec, s[48:49]
	s_cbranch_execz .LBB10_227
.LBB10_195:                             ;   Parent Loop BB10_49 Depth=1
                                        ; =>  This Inner Loop Header: Depth=2
	global_load_dwordx4 v[10:13], v[20:21], off glc slc
	global_load_dwordx4 v[14:17], v[18:19], off glc slc
                                        ; implicit-def: $vgpr57
	s_waitcnt vmcnt(0)
	v_lshlrev_b32_e32 v0, 16, v10
	v_lshlrev_b32_e32 v4, 16, v14
	v_pk_add_f32 v[24:25], v[0:1], v[4:5] op_sel_hi:[0,1]
	v_and_b32_e32 v0, 0x7f800000, v24
	v_cmp_ne_u32_e64 s[22:23], s67, v0
	s_and_saveexec_b64 s[50:51], s[22:23]
	s_xor_b64 s[22:23], exec, s[50:51]
; %bb.196:                              ;   in Loop: Header=BB10_195 Depth=2
	v_bfe_u32 v0, v24, 16, 1
	v_add3_u32 v57, v24, v0, s68
                                        ; implicit-def: $vgpr24_vgpr25
; %bb.197:                              ;   in Loop: Header=BB10_195 Depth=2
	s_andn2_saveexec_b64 s[50:51], s[22:23]
; %bb.198:                              ;   in Loop: Header=BB10_195 Depth=2
	v_or_b32_e32 v0, 0x10000, v24
	v_cmp_eq_u32_sdwa s[22:23], v24, v40 src0_sel:WORD_0 src1_sel:DWORD
	v_cndmask_b32_e64 v57, v0, v24, s[22:23]
; %bb.199:                              ;   in Loop: Header=BB10_195 Depth=2
	s_or_b64 exec, exec, s[50:51]
	v_and_b32_e32 v0, 0xffff0000, v10
	v_and_b32_e32 v4, 0xffff0000, v14
	v_pk_add_f32 v[24:25], v[0:1], v[4:5] op_sel_hi:[0,1]
	v_and_b32_e32 v0, 0x7f800000, v24
	v_cmp_ne_u32_e64 s[22:23], s67, v0
                                        ; implicit-def: $vgpr14
	s_and_saveexec_b64 s[50:51], s[22:23]
	s_xor_b64 s[22:23], exec, s[50:51]
; %bb.200:                              ;   in Loop: Header=BB10_195 Depth=2
	v_bfe_u32 v0, v24, 16, 1
	v_add3_u32 v14, v24, v0, s68
                                        ; implicit-def: $vgpr24_vgpr25
; %bb.201:                              ;   in Loop: Header=BB10_195 Depth=2
	s_andn2_saveexec_b64 s[50:51], s[22:23]
; %bb.202:                              ;   in Loop: Header=BB10_195 Depth=2
	v_or_b32_e32 v0, 0x10000, v24
	v_cmp_eq_u32_sdwa s[22:23], v24, v40 src0_sel:WORD_0 src1_sel:DWORD
	v_cndmask_b32_e64 v14, v0, v24, s[22:23]
; %bb.203:                              ;   in Loop: Header=BB10_195 Depth=2
	s_or_b64 exec, exec, s[50:51]
	v_mov_b32_e32 v3, v11
	v_lshlrev_b32_e32 v0, 16, v3
	v_lshlrev_b32_e32 v4, 16, v15
	v_pk_add_f32 v[10:11], v[0:1], v[4:5] op_sel_hi:[0,1]
	v_and_b32_e32 v0, 0x7f800000, v10
	v_cmp_ne_u32_e64 s[22:23], s67, v0
                                        ; implicit-def: $vgpr24
	s_and_saveexec_b64 s[50:51], s[22:23]
	s_xor_b64 s[22:23], exec, s[50:51]
; %bb.204:                              ;   in Loop: Header=BB10_195 Depth=2
	v_bfe_u32 v0, v10, 16, 1
	v_add3_u32 v24, v10, v0, s68
                                        ; implicit-def: $vgpr10_vgpr11
; %bb.205:                              ;   in Loop: Header=BB10_195 Depth=2
	s_andn2_saveexec_b64 s[50:51], s[22:23]
; %bb.206:                              ;   in Loop: Header=BB10_195 Depth=2
	v_or_b32_e32 v0, 0x10000, v10
	v_cmp_eq_u32_sdwa s[22:23], v10, v40 src0_sel:WORD_0 src1_sel:DWORD
	v_cndmask_b32_e64 v24, v0, v10, s[22:23]
; %bb.207:                              ;   in Loop: Header=BB10_195 Depth=2
	s_or_b64 exec, exec, s[50:51]
	v_and_b32_e32 v0, 0xffff0000, v3
	v_and_b32_e32 v4, 0xffff0000, v15
	v_pk_add_f32 v[10:11], v[0:1], v[4:5] op_sel_hi:[0,1]
	v_and_b32_e32 v0, 0x7f800000, v10
	v_cmp_ne_u32_e64 s[22:23], s67, v0
                                        ; implicit-def: $vgpr15
	s_and_saveexec_b64 s[50:51], s[22:23]
	s_xor_b64 s[22:23], exec, s[50:51]
; %bb.208:                              ;   in Loop: Header=BB10_195 Depth=2
	v_bfe_u32 v0, v10, 16, 1
	v_add3_u32 v15, v10, v0, s68
                                        ; implicit-def: $vgpr10_vgpr11
; %bb.209:                              ;   in Loop: Header=BB10_195 Depth=2
	s_andn2_saveexec_b64 s[50:51], s[22:23]
; %bb.210:                              ;   in Loop: Header=BB10_195 Depth=2
	v_or_b32_e32 v0, 0x10000, v10
	v_cmp_eq_u32_sdwa s[22:23], v10, v40 src0_sel:WORD_0 src1_sel:DWORD
	v_cndmask_b32_e64 v15, v0, v10, s[22:23]
; %bb.211:                              ;   in Loop: Header=BB10_195 Depth=2
	s_or_b64 exec, exec, s[50:51]
	v_lshlrev_b32_e32 v0, 16, v12
	v_lshlrev_b32_e32 v4, 16, v16
	v_pk_add_f32 v[10:11], v[0:1], v[4:5] op_sel_hi:[0,1]
	v_and_b32_e32 v0, 0x7f800000, v10
	v_cmp_ne_u32_e64 s[22:23], s67, v0
                                        ; implicit-def: $vgpr25
	s_and_saveexec_b64 s[50:51], s[22:23]
	s_xor_b64 s[22:23], exec, s[50:51]
; %bb.212:                              ;   in Loop: Header=BB10_195 Depth=2
	v_bfe_u32 v0, v10, 16, 1
	v_add3_u32 v25, v10, v0, s68
                                        ; implicit-def: $vgpr10_vgpr11
; %bb.213:                              ;   in Loop: Header=BB10_195 Depth=2
	s_andn2_saveexec_b64 s[50:51], s[22:23]
; %bb.214:                              ;   in Loop: Header=BB10_195 Depth=2
	v_or_b32_e32 v0, 0x10000, v10
	v_cmp_eq_u32_sdwa s[22:23], v10, v40 src0_sel:WORD_0 src1_sel:DWORD
	v_cndmask_b32_e64 v25, v0, v10, s[22:23]
; %bb.215:                              ;   in Loop: Header=BB10_195 Depth=2
	s_or_b64 exec, exec, s[50:51]
	v_and_b32_e32 v0, 0xffff0000, v12
	v_and_b32_e32 v4, 0xffff0000, v16
	v_pk_add_f32 v[10:11], v[0:1], v[4:5] op_sel_hi:[0,1]
	v_and_b32_e32 v0, 0x7f800000, v10
	v_cmp_ne_u32_e64 s[22:23], s67, v0
                                        ; implicit-def: $vgpr12
	s_and_saveexec_b64 s[50:51], s[22:23]
	s_xor_b64 s[22:23], exec, s[50:51]
; %bb.216:                              ;   in Loop: Header=BB10_195 Depth=2
	v_bfe_u32 v0, v10, 16, 1
	v_add3_u32 v12, v10, v0, s68
                                        ; implicit-def: $vgpr10_vgpr11
; %bb.217:                              ;   in Loop: Header=BB10_195 Depth=2
	s_andn2_saveexec_b64 s[50:51], s[22:23]
; %bb.218:                              ;   in Loop: Header=BB10_195 Depth=2
	v_or_b32_e32 v0, 0x10000, v10
	v_cmp_eq_u32_sdwa s[22:23], v10, v40 src0_sel:WORD_0 src1_sel:DWORD
	v_cndmask_b32_e64 v12, v0, v10, s[22:23]
; %bb.219:                              ;   in Loop: Header=BB10_195 Depth=2
	s_or_b64 exec, exec, s[50:51]
	v_mov_b32_e32 v3, v17
	v_lshlrev_b32_e32 v0, 16, v13
	v_lshlrev_b32_e32 v4, 16, v3
	v_pk_add_f32 v[10:11], v[0:1], v[4:5] op_sel_hi:[0,1]
	v_and_b32_e32 v0, 0x7f800000, v10
	v_cmp_ne_u32_e64 s[22:23], s67, v0
                                        ; implicit-def: $vgpr16
	s_and_saveexec_b64 s[50:51], s[22:23]
	s_xor_b64 s[22:23], exec, s[50:51]
; %bb.220:                              ;   in Loop: Header=BB10_195 Depth=2
	v_bfe_u32 v0, v10, 16, 1
	v_add3_u32 v16, v10, v0, s68
                                        ; implicit-def: $vgpr10_vgpr11
; %bb.221:                              ;   in Loop: Header=BB10_195 Depth=2
	s_andn2_saveexec_b64 s[50:51], s[22:23]
; %bb.222:                              ;   in Loop: Header=BB10_195 Depth=2
	v_or_b32_e32 v0, 0x10000, v10
	v_cmp_eq_u32_sdwa s[22:23], v10, v40 src0_sel:WORD_0 src1_sel:DWORD
	v_cndmask_b32_e64 v16, v0, v10, s[22:23]
; %bb.223:                              ;   in Loop: Header=BB10_195 Depth=2
	s_or_b64 exec, exec, s[50:51]
	v_and_b32_e32 v0, 0xffff0000, v13
	v_and_b32_e32 v4, 0xffff0000, v3
	v_pk_add_f32 v[10:11], v[0:1], v[4:5] op_sel_hi:[0,1]
	v_and_b32_e32 v0, 0x7f800000, v10
	v_cmp_ne_u32_e64 s[22:23], s67, v0
                                        ; implicit-def: $vgpr3
	s_and_saveexec_b64 s[50:51], s[22:23]
	s_xor_b64 s[22:23], exec, s[50:51]
; %bb.224:                              ;   in Loop: Header=BB10_195 Depth=2
	v_bfe_u32 v0, v10, 16, 1
	v_add3_u32 v3, v10, v0, s68
                                        ; implicit-def: $vgpr10_vgpr11
; %bb.225:                              ;   in Loop: Header=BB10_195 Depth=2
	s_andn2_saveexec_b64 s[50:51], s[22:23]
	s_cbranch_execz .LBB10_194
; %bb.226:                              ;   in Loop: Header=BB10_195 Depth=2
	v_or_b32_e32 v0, 0x10000, v10
	v_cmp_eq_u32_sdwa s[22:23], v10, v40 src0_sel:WORD_0 src1_sel:DWORD
	v_cndmask_b32_e64 v3, v0, v10, s[22:23]
	s_branch .LBB10_194
.LBB10_227:                             ;   in Loop: Header=BB10_49 Depth=1
	s_or_b64 exec, exec, s[48:49]
.LBB10_228:                             ;   in Loop: Header=BB10_49 Depth=1
	s_or_b64 exec, exec, s[46:47]
	v_and_b32_e32 v11, 14, v41
	v_cndmask_b32_e32 v41, v47, v11, vcc
	s_mov_b64 s[46:47], 0
	v_mov_b32_e32 v3, 0
	v_cmp_ne_u32_e64 s[22:23], 0, v41
                                        ; implicit-def: $vgpr18
                                        ; implicit-def: $vgpr10
	s_mov_b64 s[48:49], exec
	s_and_b64 s[22:23], s[48:49], s[22:23]
	v_mov_b32_e32 v22, 1
	s_mov_b64 exec, s[22:23]
	s_cbranch_execz .LBB10_230
; %bb.229:                              ;   in Loop: Header=BB10_49 Depth=1
	v_sub_u32_e32 v0, v47, v11
	v_cndmask_b32_e32 v0, 0, v0, vcc
	v_cmp_lt_i32_e32 vcc, 0, v43
	v_add3_u32 v3, v42, v28, v0
	v_cndmask_b32_e32 v0, 0, v30, vcc
	v_sub_u32_e32 v0, v0, v43
	v_lshl_add_u32 v18, v0, 6, v29
	v_ashrrev_i32_e32 v0, 31, v18
	v_lshrrev_b32_e32 v0, 26, v0
	v_add_u32_e32 v0, v18, v0
	s_mov_b64 s[46:47], exec
	v_ashrrev_i32_e32 v10, 6, v0
.LBB10_230:                             ;   in Loop: Header=BB10_49 Depth=1
	s_or_b64 exec, exec, s[48:49]
	s_and_b64 s[46:47], s[46:47], exec
.LBB10_231:                             ;   in Loop: Header=BB10_49 Depth=1
	s_or_b64 exec, exec, s[44:45]
	s_and_saveexec_b64 s[22:23], s[46:47]
	s_cbranch_execz .LBB10_276
.LBB10_232:                             ;   in Loop: Header=BB10_49 Depth=1
	v_ashrrev_i32_e32 v0, 31, v41
	v_lshrrev_b32_e32 v0, 22, v0
	v_add_u32_e32 v0, v41, v0
	v_ashrrev_i32_e32 v21, 10, v0
	v_sub_u32_e32 v19, v21, v10
	v_ashrrev_i32_e32 v0, 31, v18
	v_cmp_lt_i32_e32 vcc, 0, v19
	v_lshrrev_b32_e32 v20, 26, v0
	s_and_saveexec_b64 s[44:45], vcc
	s_cbranch_execz .LBB10_268
; %bb.233:                              ;   in Loop: Header=BB10_49 Depth=1
	v_add_u32_e32 v0, v18, v20
	v_and_b32_e32 v0, 0x7fffffc0, v0
	v_sub_u32_e32 v0, v18, v0
	v_lshlrev_b32_e32 v0, 1, v0
	s_trap 2
	ds_read_b128 v[4:7], v0
	v_lshlrev_b32_e32 v1, 10, v10
	v_add3_u32 v8, v0, v3, v1
	ds_read_b64 v[0:1], v0
	v_ashrrev_i32_e32 v9, 31, v8
	s_waitcnt lgkmcnt(0)
	v_add_co_u32_e32 v10, vcc, v4, v8
	v_addc_co_u32_e32 v11, vcc, v5, v9, vcc
	v_add_co_u32_e32 v12, vcc, v6, v8
	v_addc_co_u32_e32 v13, vcc, v7, v9, vcc
	v_add_co_u32_e32 v0, vcc, 0x380, v0
	v_addc_co_u32_e32 v1, vcc, 0, v1, vcc
	v_add_co_u32_e32 v14, vcc, v0, v8
	v_addc_co_u32_e32 v15, vcc, v1, v9, vcc
	s_mov_b64 s[46:47], 0
	s_branch .LBB10_235
.LBB10_234:                             ;   in Loop: Header=BB10_235 Depth=2
	s_or_b64 exec, exec, s[48:49]
	v_add_co_u32_e32 v0, vcc, 0xfffffc80, v14
	v_addc_co_u32_e32 v1, vcc, -1, v15, vcc
	flat_store_short_d16_hi v[0:1], v22 glc slc
	v_add_co_u32_e32 v0, vcc, 0xfffffd00, v14
	v_addc_co_u32_e32 v1, vcc, -1, v15, vcc
	flat_store_short_d16_hi v[0:1], v25 glc slc
	;; [unrolled: 3-line block ×6, first 2 shown]
	v_add_co_u32_e32 v0, vcc, s64, v14
	v_addc_co_u32_e32 v1, vcc, -1, v15, vcc
	v_add_co_u32_e32 v10, vcc, v10, v26
	v_addc_co_u32_e32 v11, vcc, v11, v62, vcc
	v_add_co_u32_e32 v12, vcc, v12, v26
	v_addc_co_u32_e32 v13, vcc, v13, v62, vcc
	v_sub_u32_e32 v19, v19, v30
	v_cmp_gt_i32_e32 vcc, 1, v19
	flat_store_short_d16_hi v[0:1], v28 glc slc
	flat_store_short_d16_hi v[14:15], v23 glc slc
	s_or_b64 s[46:47], vcc, s[46:47]
	v_add_co_u32_e32 v14, vcc, v14, v26
	v_addc_co_u32_e32 v15, vcc, v15, v62, vcc
	s_andn2_b64 exec, exec, s[46:47]
	s_cbranch_execz .LBB10_267
.LBB10_235:                             ;   Parent Loop BB10_49 Depth=1
                                        ; =>  This Inner Loop Header: Depth=2
	flat_load_ushort v42, v[10:11] offset:256 glc slc
	flat_load_ushort v47, v[10:11] offset:384 glc slc
	;; [unrolled: 1-line block ×12, first 2 shown]
	flat_load_ushort v0, v[12:13] glc slc
	flat_load_ushort v1, v[10:11] glc slc
	flat_load_ushort v25, v[10:11] offset:128 glc slc
	flat_load_ushort v61, v[12:13] offset:128 glc slc
                                        ; implicit-def: $vgpr22
	s_waitcnt vmcnt(0) lgkmcnt(0)
	v_lshlrev_b32_e32 v0, 16, v0
	v_lshlrev_b32_e32 v4, 16, v1
	v_pk_add_f32 v[16:17], v[0:1], v[4:5] op_sel_hi:[0,1]
	v_and_b32_e32 v0, 0x7f800000, v16
	v_cmp_ne_u32_e32 vcc, s67, v0
	s_and_saveexec_b64 s[48:49], vcc
	s_xor_b64 vcc, exec, s[48:49]
; %bb.236:                              ;   in Loop: Header=BB10_235 Depth=2
	v_bfe_u32 v0, v16, 16, 1
	v_add3_u32 v22, v16, v0, s68
                                        ; implicit-def: $vgpr16_vgpr17
; %bb.237:                              ;   in Loop: Header=BB10_235 Depth=2
	s_andn2_saveexec_b64 s[48:49], vcc
; %bb.238:                              ;   in Loop: Header=BB10_235 Depth=2
	v_or_b32_e32 v0, 0x10000, v16
	v_cmp_eq_u32_sdwa vcc, v16, v40 src0_sel:WORD_0 src1_sel:DWORD
	v_cndmask_b32_e32 v22, v0, v16, vcc
; %bb.239:                              ;   in Loop: Header=BB10_235 Depth=2
	s_or_b64 exec, exec, s[48:49]
	v_lshlrev_b32_e32 v0, 16, v61
	v_lshlrev_b32_e32 v4, 16, v25
	v_pk_add_f32 v[16:17], v[0:1], v[4:5] op_sel_hi:[0,1]
	v_and_b32_e32 v0, 0x7f800000, v16
	v_cmp_ne_u32_e32 vcc, s67, v0
                                        ; implicit-def: $vgpr25
	s_and_saveexec_b64 s[48:49], vcc
	s_xor_b64 vcc, exec, s[48:49]
; %bb.240:                              ;   in Loop: Header=BB10_235 Depth=2
	v_bfe_u32 v0, v16, 16, 1
	v_add3_u32 v25, v16, v0, s68
                                        ; implicit-def: $vgpr16_vgpr17
; %bb.241:                              ;   in Loop: Header=BB10_235 Depth=2
	s_andn2_saveexec_b64 s[48:49], vcc
; %bb.242:                              ;   in Loop: Header=BB10_235 Depth=2
	v_or_b32_e32 v0, 0x10000, v16
	v_cmp_eq_u32_sdwa vcc, v16, v40 src0_sel:WORD_0 src1_sel:DWORD
	v_cndmask_b32_e32 v25, v0, v16, vcc
; %bb.243:                              ;   in Loop: Header=BB10_235 Depth=2
	s_or_b64 exec, exec, s[48:49]
	v_lshlrev_b32_e32 v0, 16, v60
	v_lshlrev_b32_e32 v4, 16, v42
	v_pk_add_f32 v[16:17], v[0:1], v[4:5] op_sel_hi:[0,1]
	v_and_b32_e32 v0, 0x7f800000, v16
	v_cmp_ne_u32_e32 vcc, s67, v0
                                        ; implicit-def: $vgpr42
	s_and_saveexec_b64 s[48:49], vcc
	s_xor_b64 vcc, exec, s[48:49]
; %bb.244:                              ;   in Loop: Header=BB10_235 Depth=2
	v_bfe_u32 v0, v16, 16, 1
	v_add3_u32 v42, v16, v0, s68
                                        ; implicit-def: $vgpr16_vgpr17
; %bb.245:                              ;   in Loop: Header=BB10_235 Depth=2
	s_andn2_saveexec_b64 s[48:49], vcc
; %bb.246:                              ;   in Loop: Header=BB10_235 Depth=2
	v_or_b32_e32 v0, 0x10000, v16
	v_cmp_eq_u32_sdwa vcc, v16, v40 src0_sel:WORD_0 src1_sel:DWORD
	v_cndmask_b32_e32 v42, v0, v16, vcc
; %bb.247:                              ;   in Loop: Header=BB10_235 Depth=2
	s_or_b64 exec, exec, s[48:49]
	v_lshlrev_b32_e32 v0, 16, v59
	v_lshlrev_b32_e32 v4, 16, v47
	v_pk_add_f32 v[16:17], v[0:1], v[4:5] op_sel_hi:[0,1]
	v_and_b32_e32 v0, 0x7f800000, v16
	v_cmp_ne_u32_e32 vcc, s67, v0
                                        ; implicit-def: $vgpr47
	s_and_saveexec_b64 s[48:49], vcc
	s_xor_b64 vcc, exec, s[48:49]
; %bb.248:                              ;   in Loop: Header=BB10_235 Depth=2
	v_bfe_u32 v0, v16, 16, 1
	v_add3_u32 v47, v16, v0, s68
                                        ; implicit-def: $vgpr16_vgpr17
; %bb.249:                              ;   in Loop: Header=BB10_235 Depth=2
	s_andn2_saveexec_b64 s[48:49], vcc
; %bb.250:                              ;   in Loop: Header=BB10_235 Depth=2
	v_or_b32_e32 v0, 0x10000, v16
	v_cmp_eq_u32_sdwa vcc, v16, v40 src0_sel:WORD_0 src1_sel:DWORD
	v_cndmask_b32_e32 v47, v0, v16, vcc
; %bb.251:                              ;   in Loop: Header=BB10_235 Depth=2
	s_or_b64 exec, exec, s[48:49]
	v_lshlrev_b32_e32 v0, 16, v58
	v_lshlrev_b32_e32 v4, 16, v57
	v_pk_add_f32 v[16:17], v[0:1], v[4:5] op_sel_hi:[0,1]
	v_and_b32_e32 v0, 0x7f800000, v16
	v_cmp_ne_u32_e32 vcc, s67, v0
                                        ; implicit-def: $vgpr57
	s_and_saveexec_b64 s[48:49], vcc
	s_xor_b64 vcc, exec, s[48:49]
; %bb.252:                              ;   in Loop: Header=BB10_235 Depth=2
	v_bfe_u32 v0, v16, 16, 1
	v_add3_u32 v57, v16, v0, s68
                                        ; implicit-def: $vgpr16_vgpr17
; %bb.253:                              ;   in Loop: Header=BB10_235 Depth=2
	s_andn2_saveexec_b64 s[48:49], vcc
; %bb.254:                              ;   in Loop: Header=BB10_235 Depth=2
	v_or_b32_e32 v0, 0x10000, v16
	v_cmp_eq_u32_sdwa vcc, v16, v40 src0_sel:WORD_0 src1_sel:DWORD
	v_cndmask_b32_e32 v57, v0, v16, vcc
; %bb.255:                              ;   in Loop: Header=BB10_235 Depth=2
	s_or_b64 exec, exec, s[48:49]
	v_lshlrev_b32_e32 v0, 16, v56
	v_lshlrev_b32_e32 v4, 16, v43
	v_pk_add_f32 v[16:17], v[0:1], v[4:5] op_sel_hi:[0,1]
	v_and_b32_e32 v0, 0x7f800000, v16
	v_cmp_ne_u32_e32 vcc, s67, v0
                                        ; implicit-def: $vgpr43
	s_and_saveexec_b64 s[48:49], vcc
	s_xor_b64 vcc, exec, s[48:49]
; %bb.256:                              ;   in Loop: Header=BB10_235 Depth=2
	v_bfe_u32 v0, v16, 16, 1
	v_add3_u32 v43, v16, v0, s68
                                        ; implicit-def: $vgpr16_vgpr17
; %bb.257:                              ;   in Loop: Header=BB10_235 Depth=2
	s_andn2_saveexec_b64 s[48:49], vcc
; %bb.258:                              ;   in Loop: Header=BB10_235 Depth=2
	v_or_b32_e32 v0, 0x10000, v16
	v_cmp_eq_u32_sdwa vcc, v16, v40 src0_sel:WORD_0 src1_sel:DWORD
	v_cndmask_b32_e32 v43, v0, v16, vcc
; %bb.259:                              ;   in Loop: Header=BB10_235 Depth=2
	s_or_b64 exec, exec, s[48:49]
	v_lshlrev_b32_e32 v0, 16, v29
	v_lshlrev_b32_e32 v4, 16, v28
	v_pk_add_f32 v[16:17], v[0:1], v[4:5] op_sel_hi:[0,1]
	v_and_b32_e32 v0, 0x7f800000, v16
	v_cmp_ne_u32_e32 vcc, s67, v0
                                        ; implicit-def: $vgpr28
	s_and_saveexec_b64 s[48:49], vcc
	s_xor_b64 vcc, exec, s[48:49]
; %bb.260:                              ;   in Loop: Header=BB10_235 Depth=2
	v_bfe_u32 v0, v16, 16, 1
	v_add3_u32 v28, v16, v0, s68
                                        ; implicit-def: $vgpr16_vgpr17
; %bb.261:                              ;   in Loop: Header=BB10_235 Depth=2
	s_andn2_saveexec_b64 s[48:49], vcc
; %bb.262:                              ;   in Loop: Header=BB10_235 Depth=2
	v_or_b32_e32 v0, 0x10000, v16
	v_cmp_eq_u32_sdwa vcc, v16, v40 src0_sel:WORD_0 src1_sel:DWORD
	v_cndmask_b32_e32 v28, v0, v16, vcc
; %bb.263:                              ;   in Loop: Header=BB10_235 Depth=2
	s_or_b64 exec, exec, s[48:49]
	v_lshlrev_b32_e32 v0, 16, v24
	v_lshlrev_b32_e32 v4, 16, v23
	v_pk_add_f32 v[16:17], v[0:1], v[4:5] op_sel_hi:[0,1]
	v_and_b32_e32 v0, 0x7f800000, v16
	v_cmp_ne_u32_e32 vcc, s67, v0
                                        ; implicit-def: $vgpr23
	s_and_saveexec_b64 s[48:49], vcc
	s_xor_b64 vcc, exec, s[48:49]
; %bb.264:                              ;   in Loop: Header=BB10_235 Depth=2
	v_bfe_u32 v0, v16, 16, 1
	v_add3_u32 v23, v16, v0, s68
                                        ; implicit-def: $vgpr16_vgpr17
; %bb.265:                              ;   in Loop: Header=BB10_235 Depth=2
	s_andn2_saveexec_b64 s[48:49], vcc
	s_cbranch_execz .LBB10_234
; %bb.266:                              ;   in Loop: Header=BB10_235 Depth=2
	v_or_b32_e32 v0, 0x10000, v16
	v_cmp_eq_u32_sdwa vcc, v16, v40 src0_sel:WORD_0 src1_sel:DWORD
	v_cndmask_b32_e32 v23, v0, v16, vcc
	s_branch .LBB10_234
.LBB10_267:                             ;   in Loop: Header=BB10_49 Depth=1
	s_or_b64 exec, exec, s[46:47]
	v_mov_b32_e32 v58, v51
	v_accvgpr_read_b32 v9, a5
	v_accvgpr_read_b32 v59, a8
	;; [unrolled: 1-line block ×3, first 2 shown]
	v_mov_b32_e32 v22, 1
.LBB10_268:                             ;   in Loop: Header=BB10_49 Depth=1
	s_or_b64 exec, exec, s[44:45]
	v_lshlrev_b32_e32 v10, 10, v21
	v_cmp_ne_u32_e32 vcc, v41, v10
	s_and_b64 exec, exec, vcc
	s_cbranch_execz .LBB10_276
; %bb.269:                              ;   in Loop: Header=BB10_49 Depth=1
	v_add_u32_e32 v0, v18, v20
	v_and_b32_e32 v0, 0xffffffc0, v0
	v_sub_u32_e32 v0, v18, v0
	v_lshlrev_b32_e32 v1, 6, v19
	v_sub_u32_e32 v0, v0, v1
	v_ashrrev_i32_e32 v1, 31, v0
	v_lshrrev_b32_e32 v1, 26, v1
	v_add_u32_e32 v1, v0, v1
	v_and_b32_e32 v4, 0x7fffffc0, v1
	v_sub_u32_e32 v0, v0, v4
	v_lshlrev_b32_e32 v1, 1, v1
	v_and_b32_e32 v1, 0xffffff80, v1
	v_lshlrev_b32_e32 v0, 1, v0
	v_add3_u32 v10, v1, v0, v10
	v_sub_u32_e32 v18, v41, v10
	v_cmp_lt_i32_e32 vcc, 1, v18
	s_and_b64 exec, exec, vcc
	s_cbranch_execz .LBB10_276
; %bb.270:                              ;   in Loop: Header=BB10_49 Depth=1
	s_trap 2
	ds_read_b128 v[4:7], v0
	v_add_u32_e32 v3, v10, v3
	ds_read_b64 v[0:1], v0
	v_ashrrev_i32_e32 v8, 31, v3
	s_mov_b64 s[44:45], 0
	s_waitcnt lgkmcnt(0)
	v_add_co_u32_e32 v10, vcc, v4, v3
	v_addc_co_u32_e32 v11, vcc, v5, v8, vcc
	v_add_co_u32_e32 v12, vcc, v6, v3
	v_addc_co_u32_e32 v13, vcc, v7, v8, vcc
	;; [unrolled: 2-line block ×3, first 2 shown]
	s_branch .LBB10_272
.LBB10_271:                             ;   in Loop: Header=BB10_272 Depth=2
	s_or_b64 exec, exec, s[46:47]
	v_add_co_u32_e32 v10, vcc, v10, v2
	v_addc_co_u32_e32 v11, vcc, v11, v31, vcc
	v_add_co_u32_e32 v12, vcc, v12, v2
	v_addc_co_u32_e32 v13, vcc, v13, v31, vcc
	v_sub_u32_e32 v18, v18, v60
	v_cmp_gt_i32_e32 vcc, 2, v18
	flat_store_short_d16_hi v[14:15], v3 glc slc
	s_or_b64 s[44:45], vcc, s[44:45]
	v_add_co_u32_e32 v14, vcc, v14, v2
	v_addc_co_u32_e32 v15, vcc, v15, v31, vcc
	s_andn2_b64 exec, exec, s[44:45]
	s_cbranch_execz .LBB10_276
.LBB10_272:                             ;   Parent Loop BB10_49 Depth=1
                                        ; =>  This Inner Loop Header: Depth=2
	flat_load_ushort v0, v[12:13] glc slc
	flat_load_ushort v1, v[10:11] glc slc
                                        ; implicit-def: $vgpr3
	s_waitcnt vmcnt(0) lgkmcnt(0)
	v_lshlrev_b32_e32 v0, 16, v0
	v_lshlrev_b32_e32 v4, 16, v1
	v_pk_add_f32 v[16:17], v[0:1], v[4:5] op_sel_hi:[0,1]
	v_and_b32_e32 v0, 0x7f800000, v16
	v_cmp_ne_u32_e32 vcc, s67, v0
	s_and_saveexec_b64 s[46:47], vcc
	s_xor_b64 vcc, exec, s[46:47]
; %bb.273:                              ;   in Loop: Header=BB10_272 Depth=2
	v_bfe_u32 v0, v16, 16, 1
	v_add3_u32 v3, v16, v0, s68
                                        ; implicit-def: $vgpr16_vgpr17
; %bb.274:                              ;   in Loop: Header=BB10_272 Depth=2
	s_andn2_saveexec_b64 s[46:47], vcc
	s_cbranch_execz .LBB10_271
; %bb.275:                              ;   in Loop: Header=BB10_272 Depth=2
	v_or_b32_e32 v0, 0x10000, v16
	v_cmp_eq_u32_sdwa vcc, v16, v40 src0_sel:WORD_0 src1_sel:DWORD
	v_cndmask_b32_e32 v3, v0, v16, vcc
	s_branch .LBB10_271
.LBB10_276:                             ;   in Loop: Header=BB10_49 Depth=1
	s_or_b64 exec, exec, s[22:23]
	v_cmp_ne_u32_e64 s[22:23], 0, v53
.LBB10_277:                             ;   in Loop: Header=BB10_49 Depth=1
	s_and_saveexec_b64 s[44:45], s[12:13]
	s_cbranch_execz .LBB10_296
; %bb.278:                              ;   in Loop: Header=BB10_49 Depth=1
	s_and_saveexec_b64 vcc, s[34:35]
	s_xor_b64 s[46:47], exec, vcc
	s_cbranch_execz .LBB10_293
; %bb.279:                              ;   in Loop: Header=BB10_49 Depth=1
	s_and_saveexec_b64 s[48:49], s[14:15]
	s_cbranch_execz .LBB10_292
; %bb.280:                              ;   in Loop: Header=BB10_49 Depth=1
	s_mov_b64 s[52:53], exec
	v_mbcnt_lo_u32_b32 v0, s52, 0
	v_mbcnt_hi_u32_b32 v0, s53, v0
	v_cmp_eq_u32_e32 vcc, 0, v0
	s_waitcnt vmcnt(0) lgkmcnt(0)
	buffer_wbinvl1_vol
	s_and_saveexec_b64 s[50:51], vcc
	s_cbranch_execz .LBB10_282
; %bb.281:                              ;   in Loop: Header=BB10_49 Depth=1
	s_bcnt1_i32_b64 vcc_lo, s[52:53]
	v_mov_b32_e32 v0, vcc_lo
	v_mov_b32_e32 v1, v40
	ds_add_u64 v0, v[0:1]
	s_trap 2
.LBB10_282:                             ;   in Loop: Header=BB10_49 Depth=1
	s_or_b64 exec, exec, s[50:51]
	s_trap 2
	ds_read_b64 v[0:1], v0
	v_add_co_u32_e32 v38, vcc, v38, v30
	v_addc_co_u32_e32 v39, vcc, 0, v39, vcc
	s_waitcnt lgkmcnt(0)
	v_cmp_lt_u64_e32 vcc, v[0:1], v[38:39]
	s_and_saveexec_b64 s[50:51], vcc
	s_cbranch_execz .LBB10_291
; %bb.283:                              ;   in Loop: Header=BB10_49 Depth=1
	s_mov_b32 s70, 0
	s_mov_b64 s[52:53], 0
                                        ; implicit-def: $sgpr54_sgpr55
                                        ; implicit-def: $sgpr56_sgpr57
	s_branch .LBB10_285
.LBB10_284:                             ;   in Loop: Header=BB10_285 Depth=2
	s_or_b64 exec, exec, s[60:61]
	s_and_b64 vcc, exec, vcc
	s_or_b64 s[52:53], vcc, s[52:53]
	s_andn2_b64 vcc, s[54:55], exec
	s_and_b64 s[54:55], s[56:57], exec
	s_or_b64 s[54:55], vcc, s[54:55]
	s_andn2_b64 exec, exec, s[52:53]
	s_cbranch_execz .LBB10_289
.LBB10_285:                             ;   Parent Loop BB10_49 Depth=1
                                        ; =>  This Inner Loop Header: Depth=2
	s_add_i32 s70, s70, 1
	s_cmpk_lg_i32 s70, 0x2710
	s_cselect_b64 s[58:59], -1, 0
	s_and_b64 vcc, exec, s[58:59]
                                        ; implicit-def: $sgpr60_sgpr61
	s_cbranch_vccnz .LBB10_287
; %bb.286:                              ;   in Loop: Header=BB10_285 Depth=2
	s_trap 2
	ds_read_b64 v[0:1], v0
	s_andn2_b64 s[58:59], s[58:59], exec
	s_mov_b32 s70, 0
	s_mov_b64 s[60:61], -1
	s_waitcnt lgkmcnt(0)
	flat_load_dword v0, v[0:1] glc
	s_waitcnt vmcnt(0) lgkmcnt(0)
	buffer_invl2
	buffer_wbinvl1_vol
	v_cmp_eq_u32_e32 vcc, 0, v0
	s_and_b64 vcc, vcc, exec
	s_or_b64 s[58:59], s[58:59], vcc
.LBB10_287:                             ;   in Loop: Header=BB10_285 Depth=2
	s_andn2_b64 s[56:57], s[56:57], exec
	s_and_b64 s[60:61], s[60:61], exec
	s_mov_b64 vcc, -1
	s_or_b64 s[56:57], s[56:57], s[60:61]
	s_and_saveexec_b64 s[60:61], s[58:59]
	s_cbranch_execz .LBB10_284
; %bb.288:                              ;   in Loop: Header=BB10_285 Depth=2
	s_sleep 1
	s_trap 2
	ds_read_b64 v[0:1], v0
	s_andn2_b64 s[56:57], s[56:57], exec
	s_waitcnt lgkmcnt(0)
	v_cmp_ge_u64_e32 vcc, v[0:1], v[38:39]
	s_orn2_b64 vcc, vcc, exec
	s_branch .LBB10_284
.LBB10_289:                             ;   in Loop: Header=BB10_49 Depth=1
	s_or_b64 exec, exec, s[52:53]
	s_and_saveexec_b64 vcc, s[54:55]
	s_xor_b64 vcc, exec, vcc
	s_cbranch_execz .LBB10_291
; %bb.290:                              ;   in Loop: Header=BB10_49 Depth=1
	ds_write_b32 v0, v22
	s_trap 2
.LBB10_291:                             ;   in Loop: Header=BB10_49 Depth=1
	s_or_b64 exec, exec, s[50:51]
	;;#ASMSTART
	s_wakeup
	;;#ASMEND
.LBB10_292:                             ;   in Loop: Header=BB10_49 Depth=1
	s_or_b64 exec, exec, s[48:49]
.LBB10_293:                             ;   in Loop: Header=BB10_49 Depth=1
	s_andn2_saveexec_b64 vcc, s[46:47]
	s_cbranch_execz .LBB10_295
; %bb.294:                              ;   in Loop: Header=BB10_49 Depth=1
	s_waitcnt vmcnt(0) lgkmcnt(0)
	buffer_wbinvl1_vol
	s_barrier
.LBB10_295:                             ;   in Loop: Header=BB10_49 Depth=1
	s_or_b64 exec, exec, vcc
.LBB10_296:                             ;   in Loop: Header=BB10_49 Depth=1
	s_or_b64 exec, exec, s[44:45]
	v_and_b32_e32 v3, 16, v54
	v_cmp_ne_u32_e32 vcc, 0, v3
	s_and_b64 vcc, vcc, s[22:23]
	s_and_saveexec_b64 s[22:23], vcc
	s_cbranch_execz .LBB10_298
; %bb.297:                              ;   in Loop: Header=BB10_49 Depth=1
	s_waitcnt vmcnt(0) lgkmcnt(0)
	buffer_wbinvl1_vol
.LBB10_298:                             ;   in Loop: Header=BB10_49 Depth=1
	s_or_b64 exec, exec, s[22:23]
	v_cmp_ne_u32_e32 vcc, 0, v3
	s_xor_b64 s[22:23], s[20:21], -1
	s_and_b64 vcc, vcc, s[22:23]
	s_and_saveexec_b64 s[22:23], vcc
	s_cbranch_execz .LBB10_300
; %bb.299:                              ;   in Loop: Header=BB10_49 Depth=1
	v_accvgpr_read_b32 v0, a18
	v_accvgpr_read_b32 v1, a19
	flat_store_dword v[0:1], v22
.LBB10_300:                             ;   in Loop: Header=BB10_49 Depth=1
	s_or_b64 exec, exec, s[22:23]
	v_and_b32_e32 v0, 48, v54
	v_cmp_ne_u32_e32 vcc, 0, v0
	s_and_saveexec_b64 s[22:23], vcc
	s_cbranch_execz .LBB10_302
; %bb.301:                              ;   in Loop: Header=BB10_49 Depth=1
	v_accvgpr_read_b32 v4, a10
	v_accvgpr_read_b32 v6, a12
	;; [unrolled: 1-line block ×3, first 2 shown]
	v_add_co_u32_e32 v6, vcc, 1, v6
	v_addc_co_u32_e32 v7, vcc, 0, v7, vcc
	v_accvgpr_read_b32 v5, a11
	v_accvgpr_write_b32 a13, v7
	v_accvgpr_write_b32 a12, v6
	;; [unrolled: 1-line block ×4, first 2 shown]
	flat_store_dwordx2 v[32:33], v[6:7]
.LBB10_302:                             ;   in Loop: Header=BB10_49 Depth=1
	s_or_b64 exec, exec, s[22:23]
	v_mov_b32_e32 v3, v52
.LBB10_303:                             ;   in Loop: Header=BB10_49 Depth=1
	s_or_b64 exec, exec, s[42:43]
	s_and_saveexec_b64 s[42:43], s[40:41]
	s_cbranch_execz .LBB10_48
; %bb.304:                              ;   in Loop: Header=BB10_49 Depth=1
	v_and_b32_e32 v0, 12, v54
	v_cmp_ne_u32_e32 vcc, 0, v0
	s_mov_b64 s[40:41], -1
	s_and_saveexec_b64 s[22:23], vcc
	s_cbranch_execz .LBB10_316
; %bb.305:                              ;   in Loop: Header=BB10_49 Depth=1
	v_and_b32_e32 v10, 8, v54
	v_add_co_u32_e32 v0, vcc, v36, v10
	v_accvgpr_read_b32 v4, a10
	v_addc_co_u32_e32 v1, vcc, 0, v37, vcc
	v_accvgpr_read_b32 v6, a12
	v_accvgpr_read_b32 v7, a13
	v_add_co_u32_e32 v12, vcc, 1, v6
	v_addc_co_u32_e32 v13, vcc, 0, v7, vcc
	v_cmp_lt_u64_e32 vcc, v[0:1], v[12:13]
	v_mov_b32_e32 v11, 1
	v_accvgpr_read_b32 v5, a11
	s_and_saveexec_b64 s[40:41], vcc
	s_cbranch_execz .LBB10_315
; %bb.306:                              ;   in Loop: Header=BB10_49 Depth=1
	s_mov_b64 s[44:45], 0
	v_mov_b32_e32 v11, 0
                                        ; implicit-def: $sgpr46_sgpr47
	s_branch .LBB10_310
.LBB10_307:                             ;   in Loop: Header=BB10_310 Depth=2
	s_or_b64 exec, exec, s[54:55]
	v_mov_b32_e32 v14, 0
	s_orn2_b64 s[52:53], s[52:53], exec
.LBB10_308:                             ;   in Loop: Header=BB10_310 Depth=2
	s_or_b64 exec, exec, s[50:51]
	s_andn2_b64 vcc, s[46:47], exec
	s_and_b64 s[46:47], s[52:53], exec
	s_or_b64 s[46:47], vcc, s[46:47]
	v_mov_b32_e32 v11, v14
.LBB10_309:                             ;   in Loop: Header=BB10_310 Depth=2
	s_or_b64 exec, exec, s[48:49]
	s_waitcnt vmcnt(0) lgkmcnt(0)
	v_add_co_u32_e32 v0, vcc, v36, v10
	v_addc_co_u32_e32 v1, vcc, 0, v37, vcc
	v_cmp_ge_u64_e32 vcc, v[0:1], v[12:13]
	s_xor_b64 s[48:49], s[46:47], -1
	s_or_b64 vcc, s[48:49], vcc
	s_and_b64 vcc, exec, vcc
	s_or_b64 s[44:45], vcc, s[44:45]
	s_andn2_b64 exec, exec, s[44:45]
	s_cbranch_execz .LBB10_314
.LBB10_310:                             ;   Parent Loop BB10_49 Depth=1
                                        ; =>  This Inner Loop Header: Depth=2
	s_sleep 1
	flat_load_dwordx2 v[36:37], v[32:33] glc
	v_and_b32_e32 v0, 64, v54
	v_cmp_eq_u32_e32 vcc, 0, v0
	s_andn2_b64 s[46:47], s[46:47], exec
	s_and_saveexec_b64 s[48:49], vcc
	s_cbranch_execz .LBB10_309
; %bb.311:                              ;   in Loop: Header=BB10_310 Depth=2
	v_add_u32_e32 v14, 1, v11
	v_cmp_lt_i32_e32 vcc, s65, v11
	s_mov_b64 s[52:53], -1
	s_and_saveexec_b64 s[50:51], vcc
	s_cbranch_execz .LBB10_308
; %bb.312:                              ;   in Loop: Header=BB10_310 Depth=2
	s_trap 2
	ds_read_b64 v[0:1], v0
	s_waitcnt vmcnt(0) lgkmcnt(0)
	flat_load_dword v11, v[0:1] glc
	s_waitcnt vmcnt(0) lgkmcnt(0)
	buffer_invl2
	buffer_wbinvl1_vol
	v_cmp_ne_u32_e32 vcc, 0, v11
	s_and_saveexec_b64 s[54:55], vcc
	s_cbranch_execz .LBB10_307
; %bb.313:                              ;   in Loop: Header=BB10_310 Depth=2
	v_or_b32_e32 v54, 64, v54
	s_xor_b64 s[52:53], exec, -1
	ds_write_b32 v0, v11
	s_trap 2
	s_branch .LBB10_307
.LBB10_314:                             ;   in Loop: Header=BB10_49 Depth=1
	s_or_b64 exec, exec, s[44:45]
	v_and_b32_e32 v11, 12, v54
.LBB10_315:                             ;   in Loop: Header=BB10_49 Depth=1
	s_or_b64 exec, exec, s[40:41]
	v_cmp_eq_u32_e32 vcc, 0, v11
	s_orn2_b64 s[40:41], vcc, exec
	;;#ASMSTART
	s_wakeup
	;;#ASMEND
.LBB10_316:                             ;   in Loop: Header=BB10_49 Depth=1
	s_or_b64 exec, exec, s[22:23]
	v_sub_u32_e32 v0, v46, v3
	s_xor_b64 s[22:23], s[40:41], -1
	v_min_i32_e32 v10, v52, v0
	s_and_saveexec_b64 s[40:41], s[22:23]
	s_cbranch_execz .LBB10_330
; %bb.317:                              ;   in Loop: Header=BB10_49 Depth=1
	v_accvgpr_read_b32 v4, a10
	v_and_b32_e32 v0, 0x108, v54
	v_accvgpr_read_b32 v6, a12
	v_cmp_ne_u32_e32 vcc, s66, v0
	v_and_b32_e32 v12, 7, v6
	v_accvgpr_read_b32 v5, a11
	v_accvgpr_read_b32 v7, a13
	s_and_saveexec_b64 s[22:23], vcc
	s_xor_b64 s[22:23], exec, s[22:23]
                                        ; implicit-def: $vgpr14_vgpr15
; %bb.318:                              ;   in Loop: Header=BB10_49 Depth=1
	v_mov_b32_e32 v15, v40
; %bb.319:                              ;   in Loop: Header=BB10_49 Depth=1
	s_andn2_saveexec_b64 s[22:23], s[22:23]
	s_cbranch_execz .LBB10_321
; %bb.320:                              ;   in Loop: Header=BB10_49 Depth=1
	v_accvgpr_read_b32 v4, a10
	v_accvgpr_read_b32 v5, a11
	v_ashrrev_i32_e32 v11, 31, v10
	v_mov_b32_e32 v15, v40
	v_mad_u64_u32 v[0:1], vcc, v12, 24, v[4:5]
	v_lshlrev_b64 v[4:5], 1, v[10:11]
	v_accvgpr_read_b32 v6, a12
	v_accvgpr_read_b32 v7, a13
	flat_store_dwordx2 v[0:1], v[4:5] offset:8
.LBB10_321:                             ;   in Loop: Header=BB10_49 Depth=1
	s_or_b64 exec, exec, s[22:23]
	v_and_b32_e32 v0, 0x100, v54
	v_cmp_ne_u32_e32 vcc, 0, v0
	s_mov_b64 s[22:23], -1
                                        ; implicit-def: $vgpr16_vgpr17
	s_and_saveexec_b64 s[44:45], vcc
	s_cbranch_execz .LBB10_325
; %bb.322:                              ;   in Loop: Header=BB10_49 Depth=1
	v_accvgpr_read_b32 v4, a10
	v_accvgpr_read_b32 v5, a11
	v_mad_u64_u32 v[18:19], s[22:23], v12, 24, v[4:5]
	v_mov_b32_e32 v0, v19
	v_mad_u64_u32 v[0:1], s[22:23], v15, 24, v[0:1]
	v_mov_b32_e32 v19, v0
	flat_load_dword v0, v[18:19]
	v_accvgpr_read_b32 v6, a12
	v_accvgpr_read_b32 v7, a13
                                        ; implicit-def: $vgpr16_vgpr17
	s_waitcnt vmcnt(0) lgkmcnt(0)
	v_cmp_ne_u32_e32 vcc, 1, v0
	v_cmp_eq_u32_e64 s[22:23], 1, v0
	s_and_saveexec_b64 s[46:47], s[22:23]
	s_cbranch_execz .LBB10_324
; %bb.323:                              ;   in Loop: Header=BB10_49 Depth=1
	flat_load_dword v0, v[18:19] offset:4 glc
	s_waitcnt vmcnt(0) lgkmcnt(0)
	v_ashrrev_i32_e32 v1, 31, v0
	v_lshrrev_b64 v[16:17], 1, v[0:1]
.LBB10_324:                             ;   in Loop: Header=BB10_49 Depth=1
	s_or_b64 exec, exec, s[46:47]
	s_orn2_b64 s[22:23], vcc, exec
.LBB10_325:                             ;   in Loop: Header=BB10_49 Depth=1
	s_or_b64 exec, exec, s[44:45]
	s_and_saveexec_b64 vcc, s[22:23]
; %bb.326:                              ;   in Loop: Header=BB10_49 Depth=1
	v_accvgpr_read_b32 v4, a14
	v_mul_lo_u32 v0, v15, v4
	v_mul_lo_u32 v1, v12, v9
	v_mad_u64_u32 v[16:17], s[22:23], v12, v4, 0
	v_add3_u32 v17, v17, v1, v0
; %bb.327:                              ;   in Loop: Header=BB10_49 Depth=1
	s_or_b64 exec, exec, vcc
	v_lshlrev_b64 v[0:1], 1, v[16:17]
	v_accvgpr_read_b32 v4, a16
	v_accvgpr_read_b32 v5, a17
	v_add_co_u32_e32 v0, vcc, v4, v0
	v_addc_co_u32_e32 v1, vcc, v5, v1, vcc
	s_trap 2
	ds_write_b64 v0, v[0:1]
	v_and_b32_e32 v0, 0x2000, v54
	v_cmp_ne_u32_e32 vcc, 0, v0
	s_and_saveexec_b64 s[22:23], vcc
	s_cbranch_execz .LBB10_329
; %bb.328:                              ;   in Loop: Header=BB10_49 Depth=1
	ds_read_b64 v[0:1], v0 offset:584
	s_waitcnt lgkmcnt(0)
	v_add_co_u32_e32 v0, vcc, 1, v0
	v_addc_co_u32_e32 v1, vcc, 0, v1, vcc
	ds_write_b64 v0, v[0:1] offset:584
.LBB10_329:                             ;   in Loop: Header=BB10_49 Depth=1
	s_or_b64 exec, exec, s[22:23]
	v_accvgpr_read_b32 v4, a10
	v_accvgpr_read_b32 v6, a12
	;; [unrolled: 1-line block ×3, first 2 shown]
	v_add_co_u32_e32 v6, vcc, 1, v6
	v_addc_co_u32_e32 v7, vcc, 0, v7, vcc
	v_accvgpr_read_b32 v5, a11
	v_accvgpr_write_b32 a13, v7
	v_accvgpr_write_b32 a12, v6
	;; [unrolled: 1-line block ×4, first 2 shown]
.LBB10_330:                             ;   in Loop: Header=BB10_49 Depth=1
	s_or_b64 exec, exec, s[40:41]
	s_and_saveexec_b64 s[22:23], s[12:13]
	s_cbranch_execz .LBB10_349
; %bb.331:                              ;   in Loop: Header=BB10_49 Depth=1
	s_and_saveexec_b64 vcc, s[34:35]
	s_xor_b64 s[40:41], exec, vcc
	s_cbranch_execz .LBB10_346
; %bb.332:                              ;   in Loop: Header=BB10_49 Depth=1
	s_and_saveexec_b64 s[44:45], s[14:15]
	s_cbranch_execz .LBB10_345
; %bb.333:                              ;   in Loop: Header=BB10_49 Depth=1
	s_mov_b64 s[48:49], exec
	v_mbcnt_lo_u32_b32 v0, s48, 0
	v_mbcnt_hi_u32_b32 v0, s49, v0
	v_cmp_eq_u32_e32 vcc, 0, v0
	s_waitcnt vmcnt(0) lgkmcnt(0)
	buffer_wbinvl1_vol
	s_and_saveexec_b64 s[46:47], vcc
	s_cbranch_execz .LBB10_335
; %bb.334:                              ;   in Loop: Header=BB10_49 Depth=1
	s_bcnt1_i32_b64 vcc_lo, s[48:49]
	v_mov_b32_e32 v0, vcc_lo
	v_mov_b32_e32 v1, v40
	ds_add_u64 v0, v[0:1]
	s_trap 2
.LBB10_335:                             ;   in Loop: Header=BB10_49 Depth=1
	s_or_b64 exec, exec, s[46:47]
	s_trap 2
	ds_read_b64 v[0:1], v0
	v_add_co_u32_e32 v38, vcc, v38, v30
	v_addc_co_u32_e32 v39, vcc, 0, v39, vcc
	s_waitcnt lgkmcnt(0)
	v_cmp_lt_u64_e32 vcc, v[0:1], v[38:39]
	s_and_saveexec_b64 s[46:47], vcc
	s_cbranch_execz .LBB10_344
; %bb.336:                              ;   in Loop: Header=BB10_49 Depth=1
	s_mov_b32 s58, 0
	s_mov_b64 s[48:49], 0
                                        ; implicit-def: $sgpr50_sgpr51
                                        ; implicit-def: $sgpr52_sgpr53
	s_branch .LBB10_338
.LBB10_337:                             ;   in Loop: Header=BB10_338 Depth=2
	s_or_b64 exec, exec, s[56:57]
	s_and_b64 vcc, exec, vcc
	s_or_b64 s[48:49], vcc, s[48:49]
	s_andn2_b64 vcc, s[50:51], exec
	s_and_b64 s[50:51], s[52:53], exec
	s_or_b64 s[50:51], vcc, s[50:51]
	s_andn2_b64 exec, exec, s[48:49]
	s_cbranch_execz .LBB10_342
.LBB10_338:                             ;   Parent Loop BB10_49 Depth=1
                                        ; =>  This Inner Loop Header: Depth=2
	s_add_i32 s58, s58, 1
	s_cmpk_lg_i32 s58, 0x2710
	s_cselect_b64 s[54:55], -1, 0
	s_and_b64 vcc, exec, s[54:55]
                                        ; implicit-def: $sgpr56_sgpr57
	s_cbranch_vccnz .LBB10_340
; %bb.339:                              ;   in Loop: Header=BB10_338 Depth=2
	s_trap 2
	ds_read_b64 v[0:1], v0
	s_andn2_b64 s[54:55], s[54:55], exec
	s_mov_b32 s58, 0
	s_mov_b64 s[56:57], -1
	s_waitcnt lgkmcnt(0)
	flat_load_dword v0, v[0:1] glc
	s_waitcnt vmcnt(0) lgkmcnt(0)
	buffer_invl2
	buffer_wbinvl1_vol
	v_cmp_eq_u32_e32 vcc, 0, v0
	s_and_b64 vcc, vcc, exec
	s_or_b64 s[54:55], s[54:55], vcc
.LBB10_340:                             ;   in Loop: Header=BB10_338 Depth=2
	s_andn2_b64 s[52:53], s[52:53], exec
	s_and_b64 s[56:57], s[56:57], exec
	s_mov_b64 vcc, -1
	s_or_b64 s[52:53], s[52:53], s[56:57]
	s_and_saveexec_b64 s[56:57], s[54:55]
	s_cbranch_execz .LBB10_337
; %bb.341:                              ;   in Loop: Header=BB10_338 Depth=2
	s_sleep 1
	s_trap 2
	ds_read_b64 v[0:1], v0
	s_andn2_b64 s[52:53], s[52:53], exec
	s_waitcnt lgkmcnt(0)
	v_cmp_ge_u64_e32 vcc, v[0:1], v[38:39]
	s_orn2_b64 vcc, vcc, exec
	s_branch .LBB10_337
.LBB10_342:                             ;   in Loop: Header=BB10_49 Depth=1
	s_or_b64 exec, exec, s[48:49]
	s_and_saveexec_b64 vcc, s[50:51]
	s_xor_b64 vcc, exec, vcc
	s_cbranch_execz .LBB10_344
; %bb.343:                              ;   in Loop: Header=BB10_49 Depth=1
	ds_write_b32 v0, v22
	s_trap 2
.LBB10_344:                             ;   in Loop: Header=BB10_49 Depth=1
	s_or_b64 exec, exec, s[46:47]
	;;#ASMSTART
	s_wakeup
	;;#ASMEND
.LBB10_345:                             ;   in Loop: Header=BB10_49 Depth=1
	s_or_b64 exec, exec, s[44:45]
.LBB10_346:                             ;   in Loop: Header=BB10_49 Depth=1
	s_andn2_saveexec_b64 vcc, s[40:41]
	s_cbranch_execz .LBB10_348
; %bb.347:                              ;   in Loop: Header=BB10_49 Depth=1
	s_waitcnt vmcnt(0) lgkmcnt(0)
	buffer_wbinvl1_vol
	s_barrier
.LBB10_348:                             ;   in Loop: Header=BB10_49 Depth=1
	s_or_b64 exec, exec, vcc
.LBB10_349:                             ;   in Loop: Header=BB10_49 Depth=1
	s_or_b64 exec, exec, s[22:23]
	s_trap 2
	ds_read_b32 v0, v0
	v_cmp_lt_i32_e32 vcc, 0, v10
	v_and_b32_e32 v3, 16, v54
	s_waitcnt lgkmcnt(0)
	v_readfirstlane_b32 s22, v0
	s_cmp_eq_u32 s22, 0
	s_cselect_b64 s[22:23], -1, 0
	s_and_b64 s[22:23], vcc, s[22:23]
	v_cmp_ne_u32_e32 vcc, 0, v3
	s_and_b64 vcc, vcc, s[22:23]
	s_and_saveexec_b64 s[22:23], vcc
	s_cbranch_execz .LBB10_351
; %bb.350:                              ;   in Loop: Header=BB10_49 Depth=1
	s_waitcnt vmcnt(0)
	buffer_wbinvl1_vol
.LBB10_351:                             ;   in Loop: Header=BB10_49 Depth=1
	s_or_b64 exec, exec, s[22:23]
	v_cmp_ne_u32_e32 vcc, 0, v3
	s_xor_b64 s[22:23], s[20:21], -1
	s_and_b64 vcc, vcc, s[22:23]
	s_and_saveexec_b64 s[22:23], vcc
	s_cbranch_execz .LBB10_353
; %bb.352:                              ;   in Loop: Header=BB10_49 Depth=1
	v_accvgpr_read_b32 v0, a18
	v_accvgpr_read_b32 v1, a19
	flat_store_dword v[0:1], v22
.LBB10_353:                             ;   in Loop: Header=BB10_49 Depth=1
	s_or_b64 exec, exec, s[22:23]
	v_and_b32_e32 v0, 48, v54
	v_cmp_ne_u32_e32 vcc, 0, v0
	s_and_saveexec_b64 s[22:23], vcc
	s_cbranch_execz .LBB10_47
; %bb.354:                              ;   in Loop: Header=BB10_49 Depth=1
	v_accvgpr_read_b32 v4, a10
	v_accvgpr_read_b32 v6, a12
	;; [unrolled: 1-line block ×3, first 2 shown]
	v_add_co_u32_e32 v6, vcc, 1, v6
	v_addc_co_u32_e32 v7, vcc, 0, v7, vcc
	v_accvgpr_read_b32 v5, a11
	v_accvgpr_write_b32 a13, v7
	v_accvgpr_write_b32 a12, v6
	;; [unrolled: 1-line block ×4, first 2 shown]
	flat_store_dwordx2 v[32:33], v[6:7]
	s_branch .LBB10_47
.LBB10_355:
	s_or_b64 exec, exec, s[36:37]
	v_accvgpr_read_b32 v27, a3
	v_mov_b32_e32 v7, v48
	v_mov_b32_e32 v31, v49
	;; [unrolled: 1-line block ×3, first 2 shown]
	v_accvgpr_read_b32 v26, a2
.LBB10_356:
	s_or_b64 exec, exec, s[30:31]
                                        ; implicit-def: $vgpr52_vgpr53
                                        ; implicit-def: $vgpr42_vgpr43
                                        ; implicit-def: $agpr14
                                        ; implicit-def: $vgpr36_vgpr37
                                        ; implicit-def: $agpr16_agpr17
                                        ; implicit-def: $vgpr32_vgpr33
                                        ; implicit-def: $vgpr58
                                        ; implicit-def: $vgpr15
                                        ; implicit-def: $vgpr34_vgpr35
.LBB10_357:
	s_andn2_saveexec_b64 s[20:21], s[28:29]
	s_cbranch_execz .LBB10_658
; %bb.358:
	v_pk_mov_b32 v[38:39], 0, 0
	s_and_saveexec_b64 s[22:23], s[6:7]
	s_cbranch_execz .LBB10_657
; %bb.359:
	v_and_b32_e32 v0, 63, v31
	v_cmp_eq_u32_e64 s[12:13], 0, v0
	v_ashrrev_i32_e32 v0, 31, v58
	v_lshrrev_b32_e32 v0, 26, v0
	v_add_u32_e32 v0, v58, v0
	v_ashrrev_i32_e32 v9, 6, v0
	v_and_b32_e32 v0, 0xffffffc0, v0
	v_sub_u32_e32 v1, v58, v0
	v_lshlrev_b32_e32 v0, 11, v9
	v_lshl_add_u32 v0, v1, 4, v0
	v_lshrrev_b32_e32 v30, 6, v7
	v_cmp_le_i32_e64 s[14:15], v1, v15
	v_cmp_gt_i32_e64 s[16:17], 1, v1
	v_accvgpr_write_b32 a9, v1
	s_waitcnt vmcnt(0) lgkmcnt(0)
	v_accvgpr_write_b32 a18, v0
	v_ashrrev_i32_e32 v1, 31, v0
	v_mov_b32_e32 v0, 0xfffff800
	v_accvgpr_write_b32 a4, v26
	v_lshl_add_u32 v0, v30, 11, v0
	s_movk_i32 s18, 0x800
	v_accvgpr_write_b32 a5, v27
	v_accvgpr_write_b32 a15, v1
	v_ashrrev_i32_e32 v1, 31, v0
	v_add_co_u32_e64 v27, s[18:19], s18, v0
	v_mov_b32_e32 v49, v31
	v_addc_co_u32_e64 v31, s[18:19], 0, v1, s[18:19]
	v_lshlrev_b32_e32 v0, 10, v30
	v_accvgpr_write_b32 a19, v0
	v_add_u32_e32 v0, 0xfffffc00, v0
	s_movk_i32 s18, 0x400
	v_ashrrev_i32_e32 v1, 31, v0
	v_add_co_u32_e64 v62, s[18:19], s18, v0
	v_addc_co_u32_e64 v26, s[18:19], 0, v1, s[18:19]
	v_lshlrev_b32_e32 v56, 7, v30
	s_lshr_b32 s6, s62, 27
	v_add_u32_e32 v0, 0xffffff80, v56
	s_movk_i32 s18, 0x80
	s_add_i32 s6, s62, s6
	v_cmp_eq_u32_e32 vcc, 64, v7
	v_ashrrev_i32_e32 v1, 31, v0
	v_add_co_u32_e64 v60, s[18:19], s18, v0
	v_pk_mov_b32 v[40:41], 0, 0
	s_ashr_i32 s58, s6, 5
	v_cmp_ge_i32_e64 s[6:7], v58, v7
	v_cmp_ne_u32_e64 s[10:11], 64, v7
	v_accvgpr_write_b32 a0, v8
	v_cmp_ne_u32_sdwa s[28:29], v8, v7 src0_sel:WORD_0 src1_sel:DWORD
	v_mov_b32_e32 v48, v7
	v_mov_b32_e32 v51, 0
	s_movk_i32 s59, 0xff80
	v_addc_co_u32_e64 v2, s[18:19], 0, v1, s[18:19]
	s_mov_b64 s[30:31], 0
	s_movk_i32 s60, 0x270e
	s_xor_b64 s[34:35], vcc, -1
	s_mov_b32 s61, 0x7f800000
	s_movk_i32 s63, 0x7fff
	s_mov_b32 s64, 0xffff0000
	v_pk_mov_b32 v[38:39], v[40:41], v[40:41] op_sel:[0,1]
	v_accvgpr_write_b32 a1, v58
	v_accvgpr_write_b32 a8, v9
	;; [unrolled: 1-line block ×3, first 2 shown]
	s_trap 2
	s_branch .LBB10_362
.LBB10_360:                             ;   in Loop: Header=BB10_362 Depth=1
	s_or_b64 exec, exec, s[18:19]
.LBB10_361:                             ;   in Loop: Header=BB10_362 Depth=1
	s_or_b64 exec, exec, s[38:39]
	v_add_co_u32_e32 v40, vcc, v40, v34
	v_accvgpr_read_b32 v43, a3
	v_addc_co_u32_e32 v41, vcc, 0, v41, vcc
	v_accvgpr_read_b32 v42, a2
	v_cmp_ge_u64_e32 vcc, v[40:41], v[42:43]
	s_or_b64 s[30:31], vcc, s[30:31]
	s_andn2_b64 exec, exec, s[30:31]
	s_cbranch_execz .LBB10_656
.LBB10_362:                             ; =>This Loop Header: Depth=1
                                        ;     Child Loop BB10_373 Depth 2
                                        ;     Child Loop BB10_395 Depth 2
	;; [unrolled: 1-line block ×10, first 2 shown]
	v_sub_co_u32_e32 v0, vcc, v42, v40
	v_subb_co_u32_e32 v1, vcc, v43, v41, vcc
	v_accvgpr_write_b32 a2, v42
	v_cmp_lt_u64_e32 vcc, v[34:35], v[0:1]
	v_accvgpr_write_b32 a3, v43
	v_cndmask_b32_e64 v43, v1, 0, vcc
	v_cndmask_b32_e32 v42, v0, v34, vcc
	v_add_u32_e32 v0, 15, v42
	v_cmp_eq_u64_e32 vcc, 0, v[42:43]
	v_and_b32_e32 v0, 0x3ffffff0, v0
	s_or_b64 s[36:37], s[6:7], vcc
	v_max_i32_e32 v61, s58, v0
	s_xor_b64 s[18:19], s[36:37], -1
	v_mov_b32_e32 v3, 0
	s_and_saveexec_b64 s[38:39], s[18:19]
	s_cbranch_execz .LBB10_610
; %bb.363:                              ;   in Loop: Header=BB10_362 Depth=1
	s_and_saveexec_b64 s[18:19], s[4:5]
	s_cbranch_execz .LBB10_365
; %bb.364:                              ;   in Loop: Header=BB10_362 Depth=1
	s_trap 2
	ds_read2_b64 v[10:13], v0 offset1:1
	v_add_co_u32_e32 v0, vcc, v40, v52
	v_addc_co_u32_e32 v1, vcc, v41, v53, vcc
	v_lshlrev_b64 v[0:1], 1, v[0:1]
	ds_read_b64 v[4:5], v0
	s_waitcnt lgkmcnt(0)
	v_add_co_u32_e32 v6, vcc, v10, v0
	v_addc_co_u32_e32 v7, vcc, v11, v1, vcc
	ds_write_b64 v0, v[6:7]
	v_add_co_u32_e32 v6, vcc, v12, v0
	v_addc_co_u32_e32 v7, vcc, v13, v1, vcc
	ds_write_b64 v0, v[6:7]
	s_waitcnt lgkmcnt(2)
	v_add_co_u32_e32 v0, vcc, v4, v0
	v_addc_co_u32_e32 v1, vcc, v5, v1, vcc
	v_cmp_ne_u64_e32 vcc, 0, v[4:5]
	v_cndmask_b32_e32 v1, 0, v1, vcc
	v_cndmask_b32_e32 v0, 0, v0, vcc
	ds_write_b64 v0, v[0:1]
.LBB10_365:                             ;   in Loop: Header=BB10_362 Depth=1
	s_or_b64 exec, exec, s[18:19]
	v_and_b32_e32 v0, 4, v54
	v_cmp_ne_u32_e32 vcc, 0, v0
	s_mov_b64 s[40:41], -1
	s_and_saveexec_b64 s[18:19], vcc
	s_cbranch_execnz .LBB10_368
; %bb.366:                              ;   in Loop: Header=BB10_362 Depth=1
	s_or_b64 exec, exec, s[18:19]
	s_xor_b64 s[18:19], s[40:41], -1
	s_and_saveexec_b64 s[40:41], s[18:19]
	s_cbranch_execnz .LBB10_379
.LBB10_367:                             ;   in Loop: Header=BB10_362 Depth=1
	s_or_b64 exec, exec, s[40:41]
	s_and_saveexec_b64 s[18:19], s[10:11]
	s_cbranch_execnz .LBB10_388
	s_branch .LBB10_406
.LBB10_368:                             ;   in Loop: Header=BB10_362 Depth=1
	v_accvgpr_read_b32 v4, a10
	v_accvgpr_read_b32 v6, a12
	;; [unrolled: 1-line block ×3, first 2 shown]
	v_add_co_u32_e32 v10, vcc, 1, v6
	v_addc_co_u32_e32 v11, vcc, 0, v7, vcc
	v_cmp_lt_u64_e32 vcc, v[36:37], v[10:11]
	v_mov_b32_e32 v3, 1
	v_accvgpr_read_b32 v5, a11
	s_and_saveexec_b64 s[40:41], vcc
	s_cbranch_execz .LBB10_378
; %bb.369:                              ;   in Loop: Header=BB10_362 Depth=1
	s_mov_b64 s[42:43], 0
	v_mov_b32_e32 v3, 0
                                        ; implicit-def: $sgpr44_sgpr45
	s_branch .LBB10_373
.LBB10_370:                             ;   in Loop: Header=BB10_373 Depth=2
	s_or_b64 exec, exec, s[52:53]
	v_mov_b32_e32 v12, 0
	s_orn2_b64 s[50:51], s[50:51], exec
.LBB10_371:                             ;   in Loop: Header=BB10_373 Depth=2
	s_or_b64 exec, exec, s[48:49]
	s_andn2_b64 vcc, s[44:45], exec
	s_and_b64 s[44:45], s[50:51], exec
	s_or_b64 s[44:45], vcc, s[44:45]
	v_mov_b32_e32 v3, v12
.LBB10_372:                             ;   in Loop: Header=BB10_373 Depth=2
	s_or_b64 exec, exec, s[46:47]
	s_waitcnt vmcnt(0) lgkmcnt(0)
	v_cmp_ge_u64_e32 vcc, v[36:37], v[10:11]
	s_xor_b64 s[46:47], s[44:45], -1
	s_or_b64 vcc, s[46:47], vcc
	s_and_b64 vcc, exec, vcc
	s_or_b64 s[42:43], vcc, s[42:43]
	s_andn2_b64 exec, exec, s[42:43]
	s_cbranch_execz .LBB10_377
.LBB10_373:                             ;   Parent Loop BB10_362 Depth=1
                                        ; =>  This Inner Loop Header: Depth=2
	s_sleep 1
	flat_load_dwordx2 v[36:37], v[32:33] glc
	v_and_b32_e32 v0, 64, v54
	v_cmp_eq_u32_e32 vcc, 0, v0
	s_andn2_b64 s[44:45], s[44:45], exec
	s_and_saveexec_b64 s[46:47], vcc
	s_cbranch_execz .LBB10_372
; %bb.374:                              ;   in Loop: Header=BB10_373 Depth=2
	v_add_u32_e32 v12, 1, v3
	v_cmp_lt_i32_e32 vcc, s60, v3
	s_mov_b64 s[50:51], -1
	s_and_saveexec_b64 s[48:49], vcc
	s_cbranch_execz .LBB10_371
; %bb.375:                              ;   in Loop: Header=BB10_373 Depth=2
	s_trap 2
	ds_read_b64 v[0:1], v0
	s_waitcnt vmcnt(0) lgkmcnt(0)
	flat_load_dword v3, v[0:1] glc
	s_waitcnt vmcnt(0) lgkmcnt(0)
	buffer_invl2
	buffer_wbinvl1_vol
	v_cmp_ne_u32_e32 vcc, 0, v3
	s_and_saveexec_b64 s[52:53], vcc
	s_cbranch_execz .LBB10_370
; %bb.376:                              ;   in Loop: Header=BB10_373 Depth=2
	v_or_b32_e32 v54, 64, v54
	s_xor_b64 s[50:51], exec, -1
	ds_write_b32 v0, v3
	s_trap 2
	s_branch .LBB10_370
.LBB10_377:                             ;   in Loop: Header=BB10_362 Depth=1
	s_or_b64 exec, exec, s[42:43]
	v_and_b32_e32 v3, 4, v54
.LBB10_378:                             ;   in Loop: Header=BB10_362 Depth=1
	s_or_b64 exec, exec, s[40:41]
	v_cmp_eq_u32_e32 vcc, 0, v3
	s_orn2_b64 s[40:41], vcc, exec
	;;#ASMSTART
	s_wakeup
	;;#ASMEND
	s_or_b64 exec, exec, s[18:19]
	s_xor_b64 s[18:19], s[40:41], -1
	s_and_saveexec_b64 s[40:41], s[18:19]
	s_cbranch_execz .LBB10_367
.LBB10_379:                             ;   in Loop: Header=BB10_362 Depth=1
	v_accvgpr_read_b32 v4, a10
	v_and_b32_e32 v0, 0x100, v54
	v_accvgpr_read_b32 v6, a12
	v_cmp_ne_u32_e32 vcc, 0, v0
	v_and_b32_e32 v3, 7, v6
	s_mov_b64 s[18:19], -1
	v_accvgpr_read_b32 v5, a11
	v_accvgpr_read_b32 v7, a13
                                        ; implicit-def: $vgpr10_vgpr11
	s_and_saveexec_b64 s[42:43], vcc
	s_cbranch_execz .LBB10_383
; %bb.380:                              ;   in Loop: Header=BB10_362 Depth=1
	v_accvgpr_read_b32 v4, a10
	v_accvgpr_read_b32 v5, a11
	v_mad_u64_u32 v[12:13], s[18:19], v3, 24, v[4:5]
	flat_load_dword v0, v[12:13]
	v_accvgpr_read_b32 v6, a12
	v_accvgpr_read_b32 v7, a13
                                        ; implicit-def: $vgpr10_vgpr11
	s_waitcnt vmcnt(0) lgkmcnt(0)
	v_cmp_ne_u32_e32 vcc, 1, v0
	v_cmp_eq_u32_e64 s[18:19], 1, v0
	s_and_saveexec_b64 s[44:45], s[18:19]
	s_cbranch_execz .LBB10_382
; %bb.381:                              ;   in Loop: Header=BB10_362 Depth=1
	flat_load_dword v0, v[12:13] offset:4 glc
	s_waitcnt vmcnt(0) lgkmcnt(0)
	v_ashrrev_i32_e32 v1, 31, v0
	v_lshrrev_b64 v[10:11], 1, v[0:1]
.LBB10_382:                             ;   in Loop: Header=BB10_362 Depth=1
	s_or_b64 exec, exec, s[44:45]
	s_orn2_b64 s[18:19], vcc, exec
.LBB10_383:                             ;   in Loop: Header=BB10_362 Depth=1
	s_or_b64 exec, exec, s[42:43]
	s_and_saveexec_b64 vcc, s[18:19]
; %bb.384:                              ;   in Loop: Header=BB10_362 Depth=1
	v_accvgpr_read_b32 v0, a14
	v_mad_i64_i32 v[10:11], s[18:19], v3, v0, 0
; %bb.385:                              ;   in Loop: Header=BB10_362 Depth=1
	s_or_b64 exec, exec, vcc
	v_lshlrev_b64 v[0:1], 1, v[10:11]
	v_accvgpr_read_b32 v4, a16
	v_accvgpr_read_b32 v5, a17
	v_add_co_u32_e32 v0, vcc, v4, v0
	v_addc_co_u32_e32 v1, vcc, v5, v1, vcc
	ds_write_b64 v0, v[0:1] offset:728
	v_and_b32_e32 v0, 0x2000, v54
	v_cmp_ne_u32_e32 vcc, 0, v0
	s_and_saveexec_b64 s[18:19], vcc
	s_cbranch_execz .LBB10_387
; %bb.386:                              ;   in Loop: Header=BB10_362 Depth=1
	ds_read_b64 v[0:1], v0 offset:584
	s_waitcnt lgkmcnt(0)
	v_add_co_u32_e32 v0, vcc, 1, v0
	v_addc_co_u32_e32 v1, vcc, 0, v1, vcc
	ds_write_b64 v0, v[0:1] offset:584
.LBB10_387:                             ;   in Loop: Header=BB10_362 Depth=1
	s_or_b64 exec, exec, s[18:19]
	v_accvgpr_read_b32 v4, a10
	v_accvgpr_read_b32 v6, a12
	;; [unrolled: 1-line block ×3, first 2 shown]
	v_add_co_u32_e32 v6, vcc, 1, v6
	v_addc_co_u32_e32 v7, vcc, 0, v7, vcc
	v_accvgpr_read_b32 v5, a11
	v_accvgpr_write_b32 a13, v7
	v_accvgpr_write_b32 a12, v6
	;; [unrolled: 1-line block ×4, first 2 shown]
	s_or_b64 exec, exec, s[40:41]
	s_and_saveexec_b64 s[18:19], s[10:11]
	s_cbranch_execz .LBB10_406
.LBB10_388:                             ;   in Loop: Header=BB10_362 Depth=1
	s_and_saveexec_b64 vcc, s[28:29]
	s_xor_b64 s[40:41], exec, vcc
	s_cbranch_execz .LBB10_403
; %bb.389:                              ;   in Loop: Header=BB10_362 Depth=1
	s_and_saveexec_b64 s[42:43], s[12:13]
	s_cbranch_execz .LBB10_402
; %bb.390:                              ;   in Loop: Header=BB10_362 Depth=1
	s_mov_b64 s[46:47], exec
	v_mbcnt_lo_u32_b32 v0, s46, 0
	v_mbcnt_hi_u32_b32 v0, s47, v0
	v_cmp_eq_u32_e32 vcc, 0, v0
	s_waitcnt vmcnt(0) lgkmcnt(0)
	buffer_wbinvl1_vol
	s_and_saveexec_b64 s[44:45], vcc
	s_cbranch_execz .LBB10_392
; %bb.391:                              ;   in Loop: Header=BB10_362 Depth=1
	s_bcnt1_i32_b64 vcc_lo, s[46:47]
	v_mov_b32_e32 v50, vcc_lo
	ds_add_u64 v0, v[50:51]
	s_trap 2
.LBB10_392:                             ;   in Loop: Header=BB10_362 Depth=1
	s_or_b64 exec, exec, s[44:45]
	s_trap 2
	ds_read_b64 v[0:1], v0
	v_add_co_u32_e32 v38, vcc, v38, v30
	v_addc_co_u32_e32 v39, vcc, 0, v39, vcc
	s_waitcnt lgkmcnt(0)
	v_cmp_lt_u64_e32 vcc, v[0:1], v[38:39]
	s_and_saveexec_b64 s[44:45], vcc
	s_cbranch_execz .LBB10_401
; %bb.393:                              ;   in Loop: Header=BB10_362 Depth=1
	s_mov_b32 s56, 0
	s_mov_b64 s[46:47], 0
                                        ; implicit-def: $sgpr48_sgpr49
                                        ; implicit-def: $sgpr50_sgpr51
	s_branch .LBB10_395
.LBB10_394:                             ;   in Loop: Header=BB10_395 Depth=2
	s_or_b64 exec, exec, s[54:55]
	s_and_b64 vcc, exec, vcc
	s_or_b64 s[46:47], vcc, s[46:47]
	s_andn2_b64 vcc, s[48:49], exec
	s_and_b64 s[48:49], s[50:51], exec
	s_or_b64 s[48:49], vcc, s[48:49]
	s_andn2_b64 exec, exec, s[46:47]
	s_cbranch_execz .LBB10_399
.LBB10_395:                             ;   Parent Loop BB10_362 Depth=1
                                        ; =>  This Inner Loop Header: Depth=2
	s_add_i32 s56, s56, 1
	s_cmpk_lg_i32 s56, 0x2710
	s_cselect_b64 s[52:53], -1, 0
	s_and_b64 vcc, exec, s[52:53]
                                        ; implicit-def: $sgpr54_sgpr55
	s_cbranch_vccnz .LBB10_397
; %bb.396:                              ;   in Loop: Header=BB10_395 Depth=2
	s_trap 2
	ds_read_b64 v[0:1], v0
	s_andn2_b64 s[52:53], s[52:53], exec
	s_mov_b32 s56, 0
	s_mov_b64 s[54:55], -1
	s_waitcnt lgkmcnt(0)
	flat_load_dword v0, v[0:1] glc
	s_waitcnt vmcnt(0) lgkmcnt(0)
	buffer_invl2
	buffer_wbinvl1_vol
	v_cmp_eq_u32_e32 vcc, 0, v0
	s_and_b64 vcc, vcc, exec
	s_or_b64 s[52:53], s[52:53], vcc
.LBB10_397:                             ;   in Loop: Header=BB10_395 Depth=2
	s_andn2_b64 s[50:51], s[50:51], exec
	s_and_b64 s[54:55], s[54:55], exec
	s_mov_b64 vcc, -1
	s_or_b64 s[50:51], s[50:51], s[54:55]
	s_and_saveexec_b64 s[54:55], s[52:53]
	s_cbranch_execz .LBB10_394
; %bb.398:                              ;   in Loop: Header=BB10_395 Depth=2
	s_sleep 1
	s_trap 2
	ds_read_b64 v[0:1], v0
	s_andn2_b64 s[50:51], s[50:51], exec
	s_waitcnt lgkmcnt(0)
	v_cmp_ge_u64_e32 vcc, v[0:1], v[38:39]
	s_orn2_b64 vcc, vcc, exec
	s_branch .LBB10_394
.LBB10_399:                             ;   in Loop: Header=BB10_362 Depth=1
	s_or_b64 exec, exec, s[46:47]
	s_and_saveexec_b64 vcc, s[48:49]
	s_xor_b64 vcc, exec, vcc
	s_cbranch_execz .LBB10_401
; %bb.400:                              ;   in Loop: Header=BB10_362 Depth=1
	v_mov_b32_e32 v0, 1
	ds_write_b32 v0, v0
	s_trap 2
.LBB10_401:                             ;   in Loop: Header=BB10_362 Depth=1
	s_or_b64 exec, exec, s[44:45]
	;;#ASMSTART
	s_wakeup
	;;#ASMEND
.LBB10_402:                             ;   in Loop: Header=BB10_362 Depth=1
	s_or_b64 exec, exec, s[42:43]
.LBB10_403:                             ;   in Loop: Header=BB10_362 Depth=1
	s_andn2_saveexec_b64 vcc, s[40:41]
	s_cbranch_execz .LBB10_405
; %bb.404:                              ;   in Loop: Header=BB10_362 Depth=1
	s_waitcnt vmcnt(0) lgkmcnt(0)
	buffer_wbinvl1_vol
	s_barrier
.LBB10_405:                             ;   in Loop: Header=BB10_362 Depth=1
	s_or_b64 exec, exec, vcc
.LBB10_406:                             ;   in Loop: Header=BB10_362 Depth=1
	s_or_b64 exec, exec, s[18:19]
	s_trap 2
	ds_read_b32 v10, v0
	v_and_b32_e32 v0, 0x4000, v54
	v_cmp_ne_u32_e32 vcc, 0, v0
	s_and_b64 vcc, s[34:35], vcc
	s_and_saveexec_b64 s[18:19], vcc
	s_cbranch_execz .LBB10_425
; %bb.407:                              ;   in Loop: Header=BB10_362 Depth=1
	s_and_saveexec_b64 vcc, s[28:29]
	s_xor_b64 s[40:41], exec, vcc
	s_cbranch_execz .LBB10_422
; %bb.408:                              ;   in Loop: Header=BB10_362 Depth=1
	s_and_saveexec_b64 s[42:43], s[12:13]
	s_cbranch_execz .LBB10_421
; %bb.409:                              ;   in Loop: Header=BB10_362 Depth=1
	s_mov_b64 s[46:47], exec
	v_mbcnt_lo_u32_b32 v0, s46, 0
	v_mbcnt_hi_u32_b32 v0, s47, v0
	v_cmp_eq_u32_e32 vcc, 0, v0
	s_waitcnt vmcnt(0) lgkmcnt(0)
	buffer_wbinvl1_vol
	s_and_saveexec_b64 s[44:45], vcc
	s_cbranch_execz .LBB10_411
; %bb.410:                              ;   in Loop: Header=BB10_362 Depth=1
	s_bcnt1_i32_b64 vcc_lo, s[46:47]
	v_mov_b32_e32 v50, vcc_lo
	ds_add_u64 v0, v[50:51]
	s_trap 2
.LBB10_411:                             ;   in Loop: Header=BB10_362 Depth=1
	s_or_b64 exec, exec, s[44:45]
	s_trap 2
	ds_read_b64 v[0:1], v0
	v_add_co_u32_e32 v38, vcc, v38, v30
	v_addc_co_u32_e32 v39, vcc, 0, v39, vcc
	s_waitcnt lgkmcnt(0)
	v_cmp_lt_u64_e32 vcc, v[0:1], v[38:39]
	s_and_saveexec_b64 s[44:45], vcc
	s_cbranch_execz .LBB10_420
; %bb.412:                              ;   in Loop: Header=BB10_362 Depth=1
	s_mov_b32 s56, 0
	s_mov_b64 s[46:47], 0
                                        ; implicit-def: $sgpr48_sgpr49
                                        ; implicit-def: $sgpr50_sgpr51
	s_branch .LBB10_414
.LBB10_413:                             ;   in Loop: Header=BB10_414 Depth=2
	s_or_b64 exec, exec, s[54:55]
	s_and_b64 vcc, exec, vcc
	s_or_b64 s[46:47], vcc, s[46:47]
	s_andn2_b64 vcc, s[48:49], exec
	s_and_b64 s[48:49], s[50:51], exec
	s_or_b64 s[48:49], vcc, s[48:49]
	s_andn2_b64 exec, exec, s[46:47]
	s_cbranch_execz .LBB10_418
.LBB10_414:                             ;   Parent Loop BB10_362 Depth=1
                                        ; =>  This Inner Loop Header: Depth=2
	s_add_i32 s56, s56, 1
	s_cmpk_lg_i32 s56, 0x2710
	s_cselect_b64 s[52:53], -1, 0
	s_and_b64 vcc, exec, s[52:53]
                                        ; implicit-def: $sgpr54_sgpr55
	s_cbranch_vccnz .LBB10_416
; %bb.415:                              ;   in Loop: Header=BB10_414 Depth=2
	s_trap 2
	ds_read_b64 v[0:1], v0
	s_andn2_b64 s[52:53], s[52:53], exec
	s_mov_b32 s56, 0
	s_mov_b64 s[54:55], -1
	s_waitcnt lgkmcnt(0)
	flat_load_dword v0, v[0:1] glc
	s_waitcnt vmcnt(0) lgkmcnt(0)
	buffer_invl2
	buffer_wbinvl1_vol
	v_cmp_eq_u32_e32 vcc, 0, v0
	s_and_b64 vcc, vcc, exec
	s_or_b64 s[52:53], s[52:53], vcc
.LBB10_416:                             ;   in Loop: Header=BB10_414 Depth=2
	s_andn2_b64 s[50:51], s[50:51], exec
	s_and_b64 s[54:55], s[54:55], exec
	s_mov_b64 vcc, -1
	s_or_b64 s[50:51], s[50:51], s[54:55]
	s_and_saveexec_b64 s[54:55], s[52:53]
	s_cbranch_execz .LBB10_413
; %bb.417:                              ;   in Loop: Header=BB10_414 Depth=2
	s_sleep 1
	s_trap 2
	ds_read_b64 v[0:1], v0
	s_andn2_b64 s[50:51], s[50:51], exec
	s_waitcnt lgkmcnt(0)
	v_cmp_ge_u64_e32 vcc, v[0:1], v[38:39]
	s_orn2_b64 vcc, vcc, exec
	s_branch .LBB10_413
.LBB10_418:                             ;   in Loop: Header=BB10_362 Depth=1
	s_or_b64 exec, exec, s[46:47]
	s_and_saveexec_b64 vcc, s[48:49]
	s_xor_b64 vcc, exec, vcc
	s_cbranch_execz .LBB10_420
; %bb.419:                              ;   in Loop: Header=BB10_362 Depth=1
	v_mov_b32_e32 v0, 1
	ds_write_b32 v0, v0
	s_trap 2
.LBB10_420:                             ;   in Loop: Header=BB10_362 Depth=1
	s_or_b64 exec, exec, s[44:45]
	;;#ASMSTART
	s_wakeup
	;;#ASMEND
.LBB10_421:                             ;   in Loop: Header=BB10_362 Depth=1
	s_or_b64 exec, exec, s[42:43]
.LBB10_422:                             ;   in Loop: Header=BB10_362 Depth=1
	s_andn2_saveexec_b64 vcc, s[40:41]
	s_cbranch_execz .LBB10_424
; %bb.423:                              ;   in Loop: Header=BB10_362 Depth=1
	s_waitcnt vmcnt(0) lgkmcnt(0)
	buffer_wbinvl1_vol
	s_barrier
.LBB10_424:                             ;   in Loop: Header=BB10_362 Depth=1
	s_or_b64 exec, exec, vcc
.LBB10_425:                             ;   in Loop: Header=BB10_362 Depth=1
	s_or_b64 exec, exec, s[18:19]
	s_trap 2
	ds_read_b64 v[0:1], v0
	v_min_u32_e32 v61, v61, v42
	s_waitcnt lgkmcnt(0)
	v_readfirstlane_b32 s18, v0
	v_readfirstlane_b32 s19, v1
	s_cmp_eq_u64 s[18:19], 0
	s_cselect_b64 s[18:19], -1, 0
	s_or_b64 vcc, s[18:19], s[18:19]
	s_mov_b64 s[18:19], 0
	s_and_b64 vcc, exec, vcc
	s_cbranch_vccnz .LBB10_586
; %bb.426:                              ;   in Loop: Header=BB10_362 Depth=1
	s_mov_b64 s[18:19], -1
	s_and_saveexec_b64 s[40:41], s[14:15]
	s_cbranch_execz .LBB10_428
; %bb.427:                              ;   in Loop: Header=BB10_362 Depth=1
	ds_read_b32 v0, v0 offset:720
	s_waitcnt lgkmcnt(0)
	v_and_b32_e32 v0, 15, v0
	v_cmp_eq_u32_e32 vcc, 0, v0
	s_orn2_b64 s[18:19], vcc, exec
.LBB10_428:                             ;   in Loop: Header=BB10_362 Depth=1
	s_or_b64 exec, exec, s[40:41]
	s_and_saveexec_b64 s[40:41], s[16:17]
	s_cbranch_execz .LBB10_430
; %bb.429:                              ;   in Loop: Header=BB10_362 Depth=1
	ds_read_b32 v0, v0 offset:784
	s_waitcnt lgkmcnt(0)
	v_and_b32_e32 v0, 15, v0
	v_cmp_eq_u32_e32 vcc, 0, v0
	s_and_b64 vcc, s[18:19], vcc
	s_andn2_b64 s[18:19], s[18:19], exec
	s_and_b64 vcc, vcc, exec
	s_or_b64 s[18:19], s[18:19], vcc
.LBB10_430:                             ;   in Loop: Header=BB10_362 Depth=1
	s_or_b64 exec, exec, s[40:41]
	v_cmp_eq_u32_e32 vcc, 0, v10
	s_xor_b64 s[18:19], s[18:19], -1
	v_cndmask_b32_e32 v50, 0, v61, vcc
	v_cndmask_b32_e64 v0, 0, 1, s[18:19]
	v_mov_b32_e32 v3, 0
	v_lshlrev_b32_e32 v43, 1, v50
	s_mov_b64 s[42:43], -1
	;;#ASMSTART
	;;#ASMEND
	v_cmp_ne_u32_e32 vcc, 0, v0
	s_cbranch_vccz .LBB10_432
; %bb.431:                              ;   in Loop: Header=BB10_362 Depth=1
	v_mov_b32_e32 v18, v58
	v_mov_b32_e32 v10, v9
	s_and_saveexec_b64 s[18:19], s[42:43]
	s_cbranch_execnz .LBB10_541
	s_branch .LBB10_585
.LBB10_432:                             ;   in Loop: Header=BB10_362 Depth=1
	v_lshrrev_b32_e32 v0, 10, v50
	v_sub_u32_e32 v55, v0, v9
	v_cmp_lt_i32_e32 vcc, 0, v55
	s_and_saveexec_b64 s[18:19], vcc
	s_cbranch_execz .LBB10_500
; %bb.433:                              ;   in Loop: Header=BB10_362 Depth=1
	v_accvgpr_write_b32 a21, v0
	s_trap 2
	ds_read_b128 v[10:13], v0
	ds_read_b64 v[0:1], v0
	v_accvgpr_read_b32 v4, a18
	v_accvgpr_read_b32 v3, a15
	s_mov_b64 s[40:41], 0
	s_waitcnt lgkmcnt(0)
	v_add_co_u32_e32 v44, vcc, v10, v4
	v_addc_co_u32_e32 v45, vcc, v11, v3, vcc
	v_add_co_u32_e32 v46, vcc, v12, v4
	v_addc_co_u32_e32 v47, vcc, v13, v3, vcc
	s_waitcnt lgkmcnt(0)
	v_add_co_u32_e32 v56, vcc, v0, v4
	v_addc_co_u32_e32 v57, vcc, v1, v3, vcc
	s_branch .LBB10_435
.LBB10_434:                             ;   in Loop: Header=BB10_435 Depth=2
	s_or_b64 exec, exec, s[42:43]
	v_lshrrev_b32_e32 v0, 16, v29
	v_and_or_b32 v5, v23, s64, v0
	v_lshrrev_b32_e32 v0, 16, v28
	v_and_or_b32 v4, v22, s64, v0
	;; [unrolled: 2-line block ×3, first 2 shown]
	v_lshrrev_b32_e32 v0, 16, v24
	v_add_co_u32_e32 v44, vcc, v44, v27
	v_and_or_b32 v7, v21, s64, v0
	v_lshrrev_b32_e32 v0, 16, v18
	v_addc_co_u32_e32 v45, vcc, v45, v31, vcc
	v_and_or_b32 v9, v15, s64, v0
	v_lshrrev_b32_e32 v0, 16, v25
	v_add_co_u32_e32 v46, vcc, v46, v27
	v_and_or_b32 v8, v14, s64, v0
	v_lshrrev_b32_e32 v0, 16, v19
	v_addc_co_u32_e32 v47, vcc, v47, v31, vcc
	v_sub_u32_e32 v55, v55, v30
	v_and_or_b32 v10, v12, s64, v0
	v_lshrrev_b32_e32 v0, 16, v16
	v_cmp_gt_i32_e32 vcc, 1, v55
	v_and_or_b32 v11, v3, s64, v0
	global_store_dwordx4 v[56:57], v[4:7], off glc slc
	global_store_dwordx4 v[56:57], v[8:11], off offset:1024 glc slc
	s_or_b64 s[40:41], vcc, s[40:41]
	v_add_co_u32_e32 v56, vcc, v56, v27
	v_addc_co_u32_e32 v57, vcc, v57, v31, vcc
	s_andn2_b64 exec, exec, s[40:41]
	s_cbranch_execz .LBB10_499
.LBB10_435:                             ;   Parent Loop BB10_362 Depth=1
                                        ; =>  This Inner Loop Header: Depth=2
	global_load_dwordx4 v[18:21], v[46:47], off glc slc
	global_load_dwordx4 v[22:25], v[44:45], off glc slc
	global_load_dwordx4 v[14:17], v[44:45], off offset:1024 glc slc
	global_load_dwordx4 v[10:13], v[46:47], off offset:1024 glc slc
                                        ; implicit-def: $vgpr28
	s_waitcnt vmcnt(0)
	v_lshlrev_b32_e32 v0, 16, v18
	s_waitcnt vmcnt(2)
	v_lshlrev_b32_e32 v4, 16, v22
	v_pk_add_f32 v[58:59], v[0:1], v[4:5] op_sel_hi:[0,1]
	v_and_b32_e32 v0, 0x7f800000, v58
	v_cmp_ne_u32_e32 vcc, s61, v0
	s_and_saveexec_b64 s[42:43], vcc
	s_xor_b64 vcc, exec, s[42:43]
; %bb.436:                              ;   in Loop: Header=BB10_435 Depth=2
	v_bfe_u32 v0, v58, 16, 1
	v_add3_u32 v28, v58, v0, s63
                                        ; implicit-def: $vgpr58_vgpr59
; %bb.437:                              ;   in Loop: Header=BB10_435 Depth=2
	s_andn2_saveexec_b64 s[42:43], vcc
; %bb.438:                              ;   in Loop: Header=BB10_435 Depth=2
	v_or_b32_e32 v0, 0x10000, v58
	v_cmp_eq_u32_sdwa vcc, v58, v51 src0_sel:WORD_0 src1_sel:DWORD
	v_cndmask_b32_e32 v28, v0, v58, vcc
; %bb.439:                              ;   in Loop: Header=BB10_435 Depth=2
	s_or_b64 exec, exec, s[42:43]
	v_and_b32_e32 v0, 0xffff0000, v18
	v_and_b32_e32 v4, 0xffff0000, v22
	v_pk_add_f32 v[58:59], v[0:1], v[4:5] op_sel_hi:[0,1]
	v_and_b32_e32 v0, 0x7f800000, v58
	v_cmp_ne_u32_e32 vcc, s61, v0
                                        ; implicit-def: $vgpr22
	s_and_saveexec_b64 s[42:43], vcc
	s_xor_b64 vcc, exec, s[42:43]
; %bb.440:                              ;   in Loop: Header=BB10_435 Depth=2
	v_bfe_u32 v0, v58, 16, 1
	v_add3_u32 v22, v58, v0, s63
                                        ; implicit-def: $vgpr58_vgpr59
; %bb.441:                              ;   in Loop: Header=BB10_435 Depth=2
	s_andn2_saveexec_b64 s[42:43], vcc
; %bb.442:                              ;   in Loop: Header=BB10_435 Depth=2
	v_or_b32_e32 v0, 0x10000, v58
	v_cmp_eq_u32_sdwa vcc, v58, v51 src0_sel:WORD_0 src1_sel:DWORD
	v_cndmask_b32_e32 v22, v0, v58, vcc
; %bb.443:                              ;   in Loop: Header=BB10_435 Depth=2
	s_or_b64 exec, exec, s[42:43]
	v_mov_b32_e32 v3, v19
	v_lshlrev_b32_e32 v0, 16, v3
	v_lshlrev_b32_e32 v4, 16, v23
	v_pk_add_f32 v[18:19], v[0:1], v[4:5] op_sel_hi:[0,1]
	v_and_b32_e32 v0, 0x7f800000, v18
	v_cmp_ne_u32_e32 vcc, s61, v0
                                        ; implicit-def: $vgpr29
	s_and_saveexec_b64 s[42:43], vcc
	s_xor_b64 vcc, exec, s[42:43]
; %bb.444:                              ;   in Loop: Header=BB10_435 Depth=2
	v_bfe_u32 v0, v18, 16, 1
	v_add3_u32 v29, v18, v0, s63
                                        ; implicit-def: $vgpr18_vgpr19
; %bb.445:                              ;   in Loop: Header=BB10_435 Depth=2
	s_andn2_saveexec_b64 s[42:43], vcc
; %bb.446:                              ;   in Loop: Header=BB10_435 Depth=2
	v_or_b32_e32 v0, 0x10000, v18
	v_cmp_eq_u32_sdwa vcc, v18, v51 src0_sel:WORD_0 src1_sel:DWORD
	v_cndmask_b32_e32 v29, v0, v18, vcc
; %bb.447:                              ;   in Loop: Header=BB10_435 Depth=2
	s_or_b64 exec, exec, s[42:43]
	v_and_b32_e32 v0, 0xffff0000, v3
	v_and_b32_e32 v4, 0xffff0000, v23
	v_pk_add_f32 v[18:19], v[0:1], v[4:5] op_sel_hi:[0,1]
	v_and_b32_e32 v0, 0x7f800000, v18
	v_cmp_ne_u32_e32 vcc, s61, v0
                                        ; implicit-def: $vgpr23
	s_and_saveexec_b64 s[42:43], vcc
	s_xor_b64 vcc, exec, s[42:43]
; %bb.448:                              ;   in Loop: Header=BB10_435 Depth=2
	v_bfe_u32 v0, v18, 16, 1
	v_add3_u32 v23, v18, v0, s63
                                        ; implicit-def: $vgpr18_vgpr19
; %bb.449:                              ;   in Loop: Header=BB10_435 Depth=2
	s_andn2_saveexec_b64 s[42:43], vcc
; %bb.450:                              ;   in Loop: Header=BB10_435 Depth=2
	v_or_b32_e32 v0, 0x10000, v18
	v_cmp_eq_u32_sdwa vcc, v18, v51 src0_sel:WORD_0 src1_sel:DWORD
	v_cndmask_b32_e32 v23, v0, v18, vcc
; %bb.451:                              ;   in Loop: Header=BB10_435 Depth=2
	s_or_b64 exec, exec, s[42:43]
	v_lshlrev_b32_e32 v0, 16, v20
	v_lshlrev_b32_e32 v4, 16, v24
	v_pk_add_f32 v[18:19], v[0:1], v[4:5] op_sel_hi:[0,1]
	v_and_b32_e32 v0, 0x7f800000, v18
	v_cmp_ne_u32_e32 vcc, s61, v0
                                        ; implicit-def: $vgpr58
	s_and_saveexec_b64 s[42:43], vcc
	s_xor_b64 vcc, exec, s[42:43]
; %bb.452:                              ;   in Loop: Header=BB10_435 Depth=2
	v_bfe_u32 v0, v18, 16, 1
	v_add3_u32 v58, v18, v0, s63
                                        ; implicit-def: $vgpr18_vgpr19
; %bb.453:                              ;   in Loop: Header=BB10_435 Depth=2
	s_andn2_saveexec_b64 s[42:43], vcc
; %bb.454:                              ;   in Loop: Header=BB10_435 Depth=2
	v_or_b32_e32 v0, 0x10000, v18
	v_cmp_eq_u32_sdwa vcc, v18, v51 src0_sel:WORD_0 src1_sel:DWORD
	v_cndmask_b32_e32 v58, v0, v18, vcc
; %bb.455:                              ;   in Loop: Header=BB10_435 Depth=2
	s_or_b64 exec, exec, s[42:43]
	v_and_b32_e32 v0, 0xffff0000, v20
	v_and_b32_e32 v4, 0xffff0000, v24
	v_pk_add_f32 v[18:19], v[0:1], v[4:5] op_sel_hi:[0,1]
	v_and_b32_e32 v0, 0x7f800000, v18
	v_cmp_ne_u32_e32 vcc, s61, v0
                                        ; implicit-def: $vgpr20
	s_and_saveexec_b64 s[42:43], vcc
	s_xor_b64 vcc, exec, s[42:43]
; %bb.456:                              ;   in Loop: Header=BB10_435 Depth=2
	v_bfe_u32 v0, v18, 16, 1
	v_add3_u32 v20, v18, v0, s63
                                        ; implicit-def: $vgpr18_vgpr19
; %bb.457:                              ;   in Loop: Header=BB10_435 Depth=2
	s_andn2_saveexec_b64 s[42:43], vcc
; %bb.458:                              ;   in Loop: Header=BB10_435 Depth=2
	v_or_b32_e32 v0, 0x10000, v18
	v_cmp_eq_u32_sdwa vcc, v18, v51 src0_sel:WORD_0 src1_sel:DWORD
	v_cndmask_b32_e32 v20, v0, v18, vcc
; %bb.459:                              ;   in Loop: Header=BB10_435 Depth=2
	s_or_b64 exec, exec, s[42:43]
	v_mov_b32_e32 v3, v25
	v_lshlrev_b32_e32 v0, 16, v21
	v_lshlrev_b32_e32 v4, 16, v3
	v_pk_add_f32 v[18:19], v[0:1], v[4:5] op_sel_hi:[0,1]
	v_and_b32_e32 v0, 0x7f800000, v18
	v_cmp_ne_u32_e32 vcc, s61, v0
                                        ; implicit-def: $vgpr24
	s_and_saveexec_b64 s[42:43], vcc
	s_xor_b64 vcc, exec, s[42:43]
; %bb.460:                              ;   in Loop: Header=BB10_435 Depth=2
	v_bfe_u32 v0, v18, 16, 1
	v_add3_u32 v24, v18, v0, s63
                                        ; implicit-def: $vgpr18_vgpr19
; %bb.461:                              ;   in Loop: Header=BB10_435 Depth=2
	s_andn2_saveexec_b64 s[42:43], vcc
; %bb.462:                              ;   in Loop: Header=BB10_435 Depth=2
	v_or_b32_e32 v0, 0x10000, v18
	v_cmp_eq_u32_sdwa vcc, v18, v51 src0_sel:WORD_0 src1_sel:DWORD
	v_cndmask_b32_e32 v24, v0, v18, vcc
; %bb.463:                              ;   in Loop: Header=BB10_435 Depth=2
	s_or_b64 exec, exec, s[42:43]
	v_and_b32_e32 v0, 0xffff0000, v21
	v_and_b32_e32 v4, 0xffff0000, v3
	v_pk_add_f32 v[18:19], v[0:1], v[4:5] op_sel_hi:[0,1]
	v_and_b32_e32 v0, 0x7f800000, v18
	v_cmp_ne_u32_e32 vcc, s61, v0
                                        ; implicit-def: $vgpr21
	s_and_saveexec_b64 s[42:43], vcc
	s_xor_b64 vcc, exec, s[42:43]
; %bb.464:                              ;   in Loop: Header=BB10_435 Depth=2
	v_bfe_u32 v0, v18, 16, 1
	v_add3_u32 v21, v18, v0, s63
                                        ; implicit-def: $vgpr18_vgpr19
; %bb.465:                              ;   in Loop: Header=BB10_435 Depth=2
	s_andn2_saveexec_b64 s[42:43], vcc
; %bb.466:                              ;   in Loop: Header=BB10_435 Depth=2
	v_or_b32_e32 v0, 0x10000, v18
	v_cmp_eq_u32_sdwa vcc, v18, v51 src0_sel:WORD_0 src1_sel:DWORD
	v_cndmask_b32_e32 v21, v0, v18, vcc
; %bb.467:                              ;   in Loop: Header=BB10_435 Depth=2
	s_or_b64 exec, exec, s[42:43]
	s_waitcnt vmcnt(0)
	v_lshlrev_b32_e32 v0, 16, v10
	v_lshlrev_b32_e32 v4, 16, v14
	v_pk_add_f32 v[18:19], v[0:1], v[4:5] op_sel_hi:[0,1]
	v_and_b32_e32 v0, 0x7f800000, v18
	v_cmp_ne_u32_e32 vcc, s61, v0
                                        ; implicit-def: $vgpr25
	s_and_saveexec_b64 s[42:43], vcc
	s_xor_b64 vcc, exec, s[42:43]
; %bb.468:                              ;   in Loop: Header=BB10_435 Depth=2
	v_bfe_u32 v0, v18, 16, 1
	v_add3_u32 v25, v18, v0, s63
                                        ; implicit-def: $vgpr18_vgpr19
; %bb.469:                              ;   in Loop: Header=BB10_435 Depth=2
	s_andn2_saveexec_b64 s[42:43], vcc
; %bb.470:                              ;   in Loop: Header=BB10_435 Depth=2
	v_or_b32_e32 v0, 0x10000, v18
	v_cmp_eq_u32_sdwa vcc, v18, v51 src0_sel:WORD_0 src1_sel:DWORD
	v_cndmask_b32_e32 v25, v0, v18, vcc
; %bb.471:                              ;   in Loop: Header=BB10_435 Depth=2
	s_or_b64 exec, exec, s[42:43]
	v_and_b32_e32 v0, 0xffff0000, v10
	v_and_b32_e32 v4, 0xffff0000, v14
	v_pk_add_f32 v[18:19], v[0:1], v[4:5] op_sel_hi:[0,1]
	v_and_b32_e32 v0, 0x7f800000, v18
	v_cmp_ne_u32_e32 vcc, s61, v0
                                        ; implicit-def: $vgpr14
	s_and_saveexec_b64 s[42:43], vcc
	s_xor_b64 vcc, exec, s[42:43]
; %bb.472:                              ;   in Loop: Header=BB10_435 Depth=2
	v_bfe_u32 v0, v18, 16, 1
	v_add3_u32 v14, v18, v0, s63
                                        ; implicit-def: $vgpr18_vgpr19
; %bb.473:                              ;   in Loop: Header=BB10_435 Depth=2
	s_andn2_saveexec_b64 s[42:43], vcc
; %bb.474:                              ;   in Loop: Header=BB10_435 Depth=2
	v_or_b32_e32 v0, 0x10000, v18
	v_cmp_eq_u32_sdwa vcc, v18, v51 src0_sel:WORD_0 src1_sel:DWORD
	v_cndmask_b32_e32 v14, v0, v18, vcc
; %bb.475:                              ;   in Loop: Header=BB10_435 Depth=2
	s_or_b64 exec, exec, s[42:43]
	v_mov_b32_e32 v3, v11
	v_lshlrev_b32_e32 v0, 16, v3
	v_lshlrev_b32_e32 v4, 16, v15
	v_pk_add_f32 v[10:11], v[0:1], v[4:5] op_sel_hi:[0,1]
	v_and_b32_e32 v0, 0x7f800000, v10
	v_cmp_ne_u32_e32 vcc, s61, v0
                                        ; implicit-def: $vgpr18
	s_and_saveexec_b64 s[42:43], vcc
	s_xor_b64 vcc, exec, s[42:43]
; %bb.476:                              ;   in Loop: Header=BB10_435 Depth=2
	v_bfe_u32 v0, v10, 16, 1
	v_add3_u32 v18, v10, v0, s63
                                        ; implicit-def: $vgpr10_vgpr11
; %bb.477:                              ;   in Loop: Header=BB10_435 Depth=2
	s_andn2_saveexec_b64 s[42:43], vcc
; %bb.478:                              ;   in Loop: Header=BB10_435 Depth=2
	v_or_b32_e32 v0, 0x10000, v10
	v_cmp_eq_u32_sdwa vcc, v10, v51 src0_sel:WORD_0 src1_sel:DWORD
	v_cndmask_b32_e32 v18, v0, v10, vcc
; %bb.479:                              ;   in Loop: Header=BB10_435 Depth=2
	s_or_b64 exec, exec, s[42:43]
	v_and_b32_e32 v0, 0xffff0000, v3
	v_and_b32_e32 v4, 0xffff0000, v15
	v_pk_add_f32 v[10:11], v[0:1], v[4:5] op_sel_hi:[0,1]
	v_and_b32_e32 v0, 0x7f800000, v10
	v_cmp_ne_u32_e32 vcc, s61, v0
                                        ; implicit-def: $vgpr15
	s_and_saveexec_b64 s[42:43], vcc
	s_xor_b64 vcc, exec, s[42:43]
; %bb.480:                              ;   in Loop: Header=BB10_435 Depth=2
	v_bfe_u32 v0, v10, 16, 1
	v_add3_u32 v15, v10, v0, s63
                                        ; implicit-def: $vgpr10_vgpr11
; %bb.481:                              ;   in Loop: Header=BB10_435 Depth=2
	s_andn2_saveexec_b64 s[42:43], vcc
; %bb.482:                              ;   in Loop: Header=BB10_435 Depth=2
	v_or_b32_e32 v0, 0x10000, v10
	v_cmp_eq_u32_sdwa vcc, v10, v51 src0_sel:WORD_0 src1_sel:DWORD
	v_cndmask_b32_e32 v15, v0, v10, vcc
; %bb.483:                              ;   in Loop: Header=BB10_435 Depth=2
	s_or_b64 exec, exec, s[42:43]
	v_lshlrev_b32_e32 v0, 16, v12
	v_lshlrev_b32_e32 v4, 16, v16
	v_pk_add_f32 v[10:11], v[0:1], v[4:5] op_sel_hi:[0,1]
	v_and_b32_e32 v0, 0x7f800000, v10
	v_cmp_ne_u32_e32 vcc, s61, v0
                                        ; implicit-def: $vgpr19
	s_and_saveexec_b64 s[42:43], vcc
	s_xor_b64 vcc, exec, s[42:43]
; %bb.484:                              ;   in Loop: Header=BB10_435 Depth=2
	v_bfe_u32 v0, v10, 16, 1
	v_add3_u32 v19, v10, v0, s63
                                        ; implicit-def: $vgpr10_vgpr11
; %bb.485:                              ;   in Loop: Header=BB10_435 Depth=2
	s_andn2_saveexec_b64 s[42:43], vcc
; %bb.486:                              ;   in Loop: Header=BB10_435 Depth=2
	v_or_b32_e32 v0, 0x10000, v10
	v_cmp_eq_u32_sdwa vcc, v10, v51 src0_sel:WORD_0 src1_sel:DWORD
	v_cndmask_b32_e32 v19, v0, v10, vcc
; %bb.487:                              ;   in Loop: Header=BB10_435 Depth=2
	s_or_b64 exec, exec, s[42:43]
	v_and_b32_e32 v0, 0xffff0000, v12
	v_and_b32_e32 v4, 0xffff0000, v16
	v_pk_add_f32 v[10:11], v[0:1], v[4:5] op_sel_hi:[0,1]
	v_and_b32_e32 v0, 0x7f800000, v10
	v_cmp_ne_u32_e32 vcc, s61, v0
                                        ; implicit-def: $vgpr12
	s_and_saveexec_b64 s[42:43], vcc
	s_xor_b64 vcc, exec, s[42:43]
; %bb.488:                              ;   in Loop: Header=BB10_435 Depth=2
	v_bfe_u32 v0, v10, 16, 1
	v_add3_u32 v12, v10, v0, s63
                                        ; implicit-def: $vgpr10_vgpr11
; %bb.489:                              ;   in Loop: Header=BB10_435 Depth=2
	s_andn2_saveexec_b64 s[42:43], vcc
; %bb.490:                              ;   in Loop: Header=BB10_435 Depth=2
	v_or_b32_e32 v0, 0x10000, v10
	v_cmp_eq_u32_sdwa vcc, v10, v51 src0_sel:WORD_0 src1_sel:DWORD
	v_cndmask_b32_e32 v12, v0, v10, vcc
; %bb.491:                              ;   in Loop: Header=BB10_435 Depth=2
	s_or_b64 exec, exec, s[42:43]
	v_mov_b32_e32 v3, v17
	v_lshlrev_b32_e32 v0, 16, v13
	v_lshlrev_b32_e32 v4, 16, v3
	v_pk_add_f32 v[10:11], v[0:1], v[4:5] op_sel_hi:[0,1]
	v_and_b32_e32 v0, 0x7f800000, v10
	v_cmp_ne_u32_e32 vcc, s61, v0
                                        ; implicit-def: $vgpr16
	s_and_saveexec_b64 s[42:43], vcc
	s_xor_b64 vcc, exec, s[42:43]
; %bb.492:                              ;   in Loop: Header=BB10_435 Depth=2
	v_bfe_u32 v0, v10, 16, 1
	v_add3_u32 v16, v10, v0, s63
                                        ; implicit-def: $vgpr10_vgpr11
; %bb.493:                              ;   in Loop: Header=BB10_435 Depth=2
	s_andn2_saveexec_b64 s[42:43], vcc
; %bb.494:                              ;   in Loop: Header=BB10_435 Depth=2
	v_or_b32_e32 v0, 0x10000, v10
	v_cmp_eq_u32_sdwa vcc, v10, v51 src0_sel:WORD_0 src1_sel:DWORD
	v_cndmask_b32_e32 v16, v0, v10, vcc
; %bb.495:                              ;   in Loop: Header=BB10_435 Depth=2
	s_or_b64 exec, exec, s[42:43]
	v_and_b32_e32 v0, 0xffff0000, v13
	v_and_b32_e32 v4, 0xffff0000, v3
	v_pk_add_f32 v[10:11], v[0:1], v[4:5] op_sel_hi:[0,1]
	v_and_b32_e32 v0, 0x7f800000, v10
	v_cmp_ne_u32_e32 vcc, s61, v0
                                        ; implicit-def: $vgpr3
	s_and_saveexec_b64 s[42:43], vcc
	s_xor_b64 vcc, exec, s[42:43]
; %bb.496:                              ;   in Loop: Header=BB10_435 Depth=2
	v_bfe_u32 v0, v10, 16, 1
	v_add3_u32 v3, v10, v0, s63
                                        ; implicit-def: $vgpr10_vgpr11
; %bb.497:                              ;   in Loop: Header=BB10_435 Depth=2
	s_andn2_saveexec_b64 s[42:43], vcc
	s_cbranch_execz .LBB10_434
; %bb.498:                              ;   in Loop: Header=BB10_435 Depth=2
	v_or_b32_e32 v0, 0x10000, v10
	v_cmp_eq_u32_sdwa vcc, v10, v51 src0_sel:WORD_0 src1_sel:DWORD
	v_cndmask_b32_e32 v3, v0, v10, vcc
	s_branch .LBB10_434
.LBB10_499:                             ;   in Loop: Header=BB10_362 Depth=1
	s_or_b64 exec, exec, s[40:41]
	v_accvgpr_read_b32 v58, a1
	v_accvgpr_read_b32 v9, a8
	;; [unrolled: 1-line block ×4, first 2 shown]
.LBB10_500:                             ;   in Loop: Header=BB10_362 Depth=1
	s_or_b64 exec, exec, s[18:19]
	v_lshlrev_b32_e32 v28, 11, v0
	v_cmp_ne_u32_e32 vcc, v43, v28
	s_mov_b64 s[42:43], 0
	v_mov_b32_e32 v3, 0
                                        ; implicit-def: $vgpr18
                                        ; implicit-def: $vgpr10
	s_and_saveexec_b64 s[40:41], vcc
	s_cbranch_execz .LBB10_540
; %bb.501:                              ;   in Loop: Header=BB10_362 Depth=1
	v_lshlrev_b32_e32 v1, 6, v55
	v_accvgpr_read_b32 v3, a9
	v_sub_u32_e32 v1, v3, v1
	v_ashrrev_i32_e32 v3, 31, v1
	v_lshrrev_b32_e32 v3, 26, v3
	v_add_u32_e32 v3, v1, v3
	v_ashrrev_i32_e32 v4, 6, v3
	v_and_b32_e32 v3, 0xffffffc0, v3
	v_sub_u32_e32 v29, v1, v3
	v_sub_u32_e32 v0, v43, v28
	v_lshlrev_b32_e32 v1, 4, v29
	v_lshl_add_u32 v3, v4, 10, v1
	v_ashrrev_i32_e32 v1, 31, v0
	v_lshrrev_b32_e32 v1, 22, v1
	v_add_u32_e32 v1, v0, v1
	v_and_b32_e32 v55, 0xfffffc00, v1
	v_sub_u32_e32 v45, v0, v55
	v_ashrrev_i32_e32 v5, 10, v1
	v_cmp_lt_i32_e32 vcc, 15, v45
	v_sub_u32_e32 v46, v0, v3
	v_addc_co_u32_e64 v0, s[18:19], 0, v5, vcc
	v_sub_u32_e32 v44, v0, v4
	v_cmp_lt_i32_e64 s[18:19], 15, v46
	s_and_saveexec_b64 s[42:43], s[18:19]
	s_cbranch_execz .LBB10_537
; %bb.502:                              ;   in Loop: Header=BB10_362 Depth=1
	s_trap 2
	ds_read_b128 v[4:7], v0
	v_add_u32_e32 v3, v3, v28
	ds_read_b64 v[0:1], v0
	v_ashrrev_i32_e32 v8, 31, v3
	s_mov_b64 s[44:45], 0
	s_waitcnt lgkmcnt(0)
	v_add_co_u32_e64 v18, s[18:19], v4, v3
	v_addc_co_u32_e64 v19, s[18:19], v5, v8, s[18:19]
	v_add_co_u32_e64 v20, s[18:19], v6, v3
	v_addc_co_u32_e64 v21, s[18:19], v7, v8, s[18:19]
	s_waitcnt lgkmcnt(0)
	v_add_co_u32_e64 v22, s[18:19], v0, v3
	v_addc_co_u32_e64 v23, s[18:19], v1, v8, s[18:19]
	v_accvgpr_read_b32 v1, a19
	s_branch .LBB10_504
.LBB10_503:                             ;   in Loop: Header=BB10_504 Depth=2
	s_or_b64 exec, exec, s[46:47]
	v_lshrrev_b32_e32 v0, 16, v24
	v_and_or_b32 v5, v15, s64, v0
	v_lshrrev_b32_e32 v0, 16, v47
	v_add_co_u32_e64 v18, s[18:19], v18, v62
	v_and_or_b32 v4, v14, s64, v0
	v_lshrrev_b32_e32 v0, 16, v25
	v_addc_co_u32_e64 v19, s[18:19], v19, v26, s[18:19]
	v_and_or_b32 v6, v12, s64, v0
	v_lshrrev_b32_e32 v0, 16, v16
	v_add_co_u32_e64 v20, s[18:19], v20, v62
	v_and_or_b32 v7, v3, s64, v0
	v_addc_co_u32_e64 v21, s[18:19], v21, v26, s[18:19]
	global_store_dwordx4 v[22:23], v[4:7], off glc slc
	v_add_co_u32_e64 v22, s[18:19], v22, v62
	v_addc_co_u32_e64 v23, s[18:19], v23, v26, s[18:19]
	v_sub_u32_e32 v46, v46, v1
	v_cmp_gt_i32_e64 s[18:19], 16, v46
	s_or_b64 s[44:45], s[18:19], s[44:45]
	v_sub_u32_e32 v44, v44, v30
	s_andn2_b64 exec, exec, s[44:45]
	s_cbranch_execz .LBB10_536
.LBB10_504:                             ;   Parent Loop BB10_362 Depth=1
                                        ; =>  This Inner Loop Header: Depth=2
	global_load_dwordx4 v[10:13], v[20:21], off glc slc
	global_load_dwordx4 v[14:17], v[18:19], off glc slc
                                        ; implicit-def: $vgpr47
	s_waitcnt vmcnt(0)
	v_lshlrev_b32_e32 v0, 16, v10
	s_waitcnt vmcnt(0)
	v_lshlrev_b32_e32 v4, 16, v14
	v_pk_add_f32 v[24:25], v[0:1], v[4:5] op_sel_hi:[0,1]
	v_and_b32_e32 v0, 0x7f800000, v24
	v_cmp_ne_u32_e64 s[18:19], s61, v0
	s_and_saveexec_b64 s[46:47], s[18:19]
	s_xor_b64 s[18:19], exec, s[46:47]
; %bb.505:                              ;   in Loop: Header=BB10_504 Depth=2
	v_bfe_u32 v0, v24, 16, 1
	v_add3_u32 v47, v24, v0, s63
                                        ; implicit-def: $vgpr24_vgpr25
; %bb.506:                              ;   in Loop: Header=BB10_504 Depth=2
	s_andn2_saveexec_b64 s[46:47], s[18:19]
; %bb.507:                              ;   in Loop: Header=BB10_504 Depth=2
	v_or_b32_e32 v0, 0x10000, v24
	v_cmp_eq_u32_sdwa s[18:19], v24, v51 src0_sel:WORD_0 src1_sel:DWORD
	v_cndmask_b32_e64 v47, v0, v24, s[18:19]
; %bb.508:                              ;   in Loop: Header=BB10_504 Depth=2
	s_or_b64 exec, exec, s[46:47]
	v_and_b32_e32 v0, 0xffff0000, v10
	v_and_b32_e32 v4, 0xffff0000, v14
	v_pk_add_f32 v[24:25], v[0:1], v[4:5] op_sel_hi:[0,1]
	v_and_b32_e32 v0, 0x7f800000, v24
	v_cmp_ne_u32_e64 s[18:19], s61, v0
                                        ; implicit-def: $vgpr14
	s_and_saveexec_b64 s[46:47], s[18:19]
	s_xor_b64 s[18:19], exec, s[46:47]
; %bb.509:                              ;   in Loop: Header=BB10_504 Depth=2
	v_bfe_u32 v0, v24, 16, 1
	v_add3_u32 v14, v24, v0, s63
                                        ; implicit-def: $vgpr24_vgpr25
; %bb.510:                              ;   in Loop: Header=BB10_504 Depth=2
	s_andn2_saveexec_b64 s[46:47], s[18:19]
; %bb.511:                              ;   in Loop: Header=BB10_504 Depth=2
	v_or_b32_e32 v0, 0x10000, v24
	v_cmp_eq_u32_sdwa s[18:19], v24, v51 src0_sel:WORD_0 src1_sel:DWORD
	v_cndmask_b32_e64 v14, v0, v24, s[18:19]
; %bb.512:                              ;   in Loop: Header=BB10_504 Depth=2
	s_or_b64 exec, exec, s[46:47]
	v_mov_b32_e32 v3, v11
	v_lshlrev_b32_e32 v0, 16, v3
	v_lshlrev_b32_e32 v4, 16, v15
	v_pk_add_f32 v[10:11], v[0:1], v[4:5] op_sel_hi:[0,1]
	v_and_b32_e32 v0, 0x7f800000, v10
	v_cmp_ne_u32_e64 s[18:19], s61, v0
                                        ; implicit-def: $vgpr24
	s_and_saveexec_b64 s[46:47], s[18:19]
	s_xor_b64 s[18:19], exec, s[46:47]
; %bb.513:                              ;   in Loop: Header=BB10_504 Depth=2
	v_bfe_u32 v0, v10, 16, 1
	v_add3_u32 v24, v10, v0, s63
                                        ; implicit-def: $vgpr10_vgpr11
; %bb.514:                              ;   in Loop: Header=BB10_504 Depth=2
	s_andn2_saveexec_b64 s[46:47], s[18:19]
; %bb.515:                              ;   in Loop: Header=BB10_504 Depth=2
	v_or_b32_e32 v0, 0x10000, v10
	v_cmp_eq_u32_sdwa s[18:19], v10, v51 src0_sel:WORD_0 src1_sel:DWORD
	v_cndmask_b32_e64 v24, v0, v10, s[18:19]
; %bb.516:                              ;   in Loop: Header=BB10_504 Depth=2
	s_or_b64 exec, exec, s[46:47]
	v_and_b32_e32 v0, 0xffff0000, v3
	v_and_b32_e32 v4, 0xffff0000, v15
	v_pk_add_f32 v[10:11], v[0:1], v[4:5] op_sel_hi:[0,1]
	v_and_b32_e32 v0, 0x7f800000, v10
	v_cmp_ne_u32_e64 s[18:19], s61, v0
                                        ; implicit-def: $vgpr15
	s_and_saveexec_b64 s[46:47], s[18:19]
	s_xor_b64 s[18:19], exec, s[46:47]
; %bb.517:                              ;   in Loop: Header=BB10_504 Depth=2
	v_bfe_u32 v0, v10, 16, 1
	v_add3_u32 v15, v10, v0, s63
                                        ; implicit-def: $vgpr10_vgpr11
; %bb.518:                              ;   in Loop: Header=BB10_504 Depth=2
	s_andn2_saveexec_b64 s[46:47], s[18:19]
; %bb.519:                              ;   in Loop: Header=BB10_504 Depth=2
	v_or_b32_e32 v0, 0x10000, v10
	v_cmp_eq_u32_sdwa s[18:19], v10, v51 src0_sel:WORD_0 src1_sel:DWORD
	v_cndmask_b32_e64 v15, v0, v10, s[18:19]
; %bb.520:                              ;   in Loop: Header=BB10_504 Depth=2
	s_or_b64 exec, exec, s[46:47]
	v_lshlrev_b32_e32 v0, 16, v12
	v_lshlrev_b32_e32 v4, 16, v16
	v_pk_add_f32 v[10:11], v[0:1], v[4:5] op_sel_hi:[0,1]
	v_and_b32_e32 v0, 0x7f800000, v10
	v_cmp_ne_u32_e64 s[18:19], s61, v0
                                        ; implicit-def: $vgpr25
	s_and_saveexec_b64 s[46:47], s[18:19]
	s_xor_b64 s[18:19], exec, s[46:47]
; %bb.521:                              ;   in Loop: Header=BB10_504 Depth=2
	v_bfe_u32 v0, v10, 16, 1
	v_add3_u32 v25, v10, v0, s63
                                        ; implicit-def: $vgpr10_vgpr11
; %bb.522:                              ;   in Loop: Header=BB10_504 Depth=2
	s_andn2_saveexec_b64 s[46:47], s[18:19]
; %bb.523:                              ;   in Loop: Header=BB10_504 Depth=2
	v_or_b32_e32 v0, 0x10000, v10
	v_cmp_eq_u32_sdwa s[18:19], v10, v51 src0_sel:WORD_0 src1_sel:DWORD
	v_cndmask_b32_e64 v25, v0, v10, s[18:19]
; %bb.524:                              ;   in Loop: Header=BB10_504 Depth=2
	s_or_b64 exec, exec, s[46:47]
	v_and_b32_e32 v0, 0xffff0000, v12
	v_and_b32_e32 v4, 0xffff0000, v16
	v_pk_add_f32 v[10:11], v[0:1], v[4:5] op_sel_hi:[0,1]
	v_and_b32_e32 v0, 0x7f800000, v10
	v_cmp_ne_u32_e64 s[18:19], s61, v0
                                        ; implicit-def: $vgpr12
	s_and_saveexec_b64 s[46:47], s[18:19]
	s_xor_b64 s[18:19], exec, s[46:47]
; %bb.525:                              ;   in Loop: Header=BB10_504 Depth=2
	v_bfe_u32 v0, v10, 16, 1
	v_add3_u32 v12, v10, v0, s63
                                        ; implicit-def: $vgpr10_vgpr11
; %bb.526:                              ;   in Loop: Header=BB10_504 Depth=2
	s_andn2_saveexec_b64 s[46:47], s[18:19]
; %bb.527:                              ;   in Loop: Header=BB10_504 Depth=2
	v_or_b32_e32 v0, 0x10000, v10
	v_cmp_eq_u32_sdwa s[18:19], v10, v51 src0_sel:WORD_0 src1_sel:DWORD
	v_cndmask_b32_e64 v12, v0, v10, s[18:19]
; %bb.528:                              ;   in Loop: Header=BB10_504 Depth=2
	s_or_b64 exec, exec, s[46:47]
	v_mov_b32_e32 v3, v17
	v_lshlrev_b32_e32 v0, 16, v13
	v_lshlrev_b32_e32 v4, 16, v3
	v_pk_add_f32 v[10:11], v[0:1], v[4:5] op_sel_hi:[0,1]
	v_and_b32_e32 v0, 0x7f800000, v10
	v_cmp_ne_u32_e64 s[18:19], s61, v0
                                        ; implicit-def: $vgpr16
	s_and_saveexec_b64 s[46:47], s[18:19]
	s_xor_b64 s[18:19], exec, s[46:47]
; %bb.529:                              ;   in Loop: Header=BB10_504 Depth=2
	v_bfe_u32 v0, v10, 16, 1
	v_add3_u32 v16, v10, v0, s63
                                        ; implicit-def: $vgpr10_vgpr11
; %bb.530:                              ;   in Loop: Header=BB10_504 Depth=2
	s_andn2_saveexec_b64 s[46:47], s[18:19]
; %bb.531:                              ;   in Loop: Header=BB10_504 Depth=2
	v_or_b32_e32 v0, 0x10000, v10
	v_cmp_eq_u32_sdwa s[18:19], v10, v51 src0_sel:WORD_0 src1_sel:DWORD
	v_cndmask_b32_e64 v16, v0, v10, s[18:19]
; %bb.532:                              ;   in Loop: Header=BB10_504 Depth=2
	s_or_b64 exec, exec, s[46:47]
	v_and_b32_e32 v0, 0xffff0000, v13
	v_and_b32_e32 v4, 0xffff0000, v3
	v_pk_add_f32 v[10:11], v[0:1], v[4:5] op_sel_hi:[0,1]
	v_and_b32_e32 v0, 0x7f800000, v10
	v_cmp_ne_u32_e64 s[18:19], s61, v0
                                        ; implicit-def: $vgpr3
	s_and_saveexec_b64 s[46:47], s[18:19]
	s_xor_b64 s[18:19], exec, s[46:47]
; %bb.533:                              ;   in Loop: Header=BB10_504 Depth=2
	v_bfe_u32 v0, v10, 16, 1
	v_add3_u32 v3, v10, v0, s63
                                        ; implicit-def: $vgpr10_vgpr11
; %bb.534:                              ;   in Loop: Header=BB10_504 Depth=2
	s_andn2_saveexec_b64 s[46:47], s[18:19]
	s_cbranch_execz .LBB10_503
; %bb.535:                              ;   in Loop: Header=BB10_504 Depth=2
	v_or_b32_e32 v0, 0x10000, v10
	v_cmp_eq_u32_sdwa s[18:19], v10, v51 src0_sel:WORD_0 src1_sel:DWORD
	v_cndmask_b32_e64 v3, v0, v10, s[18:19]
	s_branch .LBB10_503
.LBB10_536:                             ;   in Loop: Header=BB10_362 Depth=1
	s_or_b64 exec, exec, s[44:45]
.LBB10_537:                             ;   in Loop: Header=BB10_362 Depth=1
	s_or_b64 exec, exec, s[42:43]
	v_and_b32_e32 v11, 14, v43
	v_cndmask_b32_e32 v43, v45, v11, vcc
	v_cmp_ne_u32_e64 s[18:19], 0, v43
	s_mov_b64 s[42:43], 0
	v_mov_b32_e32 v3, 0
                                        ; implicit-def: $vgpr18
                                        ; implicit-def: $vgpr10
	s_and_saveexec_b64 s[44:45], s[18:19]
	s_cbranch_execz .LBB10_539
; %bb.538:                              ;   in Loop: Header=BB10_362 Depth=1
	v_sub_u32_e32 v0, v45, v11
	v_cndmask_b32_e32 v0, 0, v0, vcc
	v_cmp_lt_i32_e32 vcc, 0, v44
	v_add3_u32 v3, v55, v28, v0
	v_cndmask_b32_e32 v0, 0, v30, vcc
	v_sub_u32_e32 v0, v0, v44
	v_lshl_add_u32 v18, v0, 6, v29
	v_ashrrev_i32_e32 v0, 31, v18
	v_lshrrev_b32_e32 v0, 26, v0
	v_add_u32_e32 v0, v18, v0
	s_mov_b64 s[42:43], exec
	v_ashrrev_i32_e32 v10, 6, v0
.LBB10_539:                             ;   in Loop: Header=BB10_362 Depth=1
	s_or_b64 exec, exec, s[44:45]
	s_and_b64 s[42:43], s[42:43], exec
.LBB10_540:                             ;   in Loop: Header=BB10_362 Depth=1
	s_or_b64 exec, exec, s[40:41]
	s_and_saveexec_b64 s[18:19], s[42:43]
	s_cbranch_execz .LBB10_585
.LBB10_541:                             ;   in Loop: Header=BB10_362 Depth=1
	v_ashrrev_i32_e32 v0, 31, v43
	v_lshrrev_b32_e32 v0, 22, v0
	v_add_u32_e32 v0, v43, v0
	v_ashrrev_i32_e32 v21, 10, v0
	v_sub_u32_e32 v19, v21, v10
	v_ashrrev_i32_e32 v0, 31, v18
	v_cmp_lt_i32_e32 vcc, 0, v19
	v_lshrrev_b32_e32 v20, 26, v0
	s_and_saveexec_b64 s[40:41], vcc
	s_cbranch_execz .LBB10_577
; %bb.542:                              ;   in Loop: Header=BB10_362 Depth=1
	v_add_u32_e32 v0, v18, v20
	v_and_b32_e32 v0, 0x7fffffc0, v0
	v_sub_u32_e32 v0, v18, v0
	v_lshlrev_b32_e32 v0, 1, v0
	s_trap 2
	ds_read_b128 v[4:7], v0
	v_lshlrev_b32_e32 v1, 10, v10
	v_add3_u32 v8, v0, v3, v1
	ds_read_b64 v[0:1], v0
	v_ashrrev_i32_e32 v9, 31, v8
	s_waitcnt lgkmcnt(0)
	v_add_co_u32_e32 v10, vcc, v4, v8
	v_addc_co_u32_e32 v11, vcc, v5, v9, vcc
	v_add_co_u32_e32 v12, vcc, v6, v8
	v_addc_co_u32_e32 v13, vcc, v7, v9, vcc
	s_waitcnt lgkmcnt(0)
	v_add_co_u32_e32 v0, vcc, 0x380, v0
	v_addc_co_u32_e32 v1, vcc, 0, v1, vcc
	v_add_co_u32_e32 v14, vcc, v0, v8
	v_addc_co_u32_e32 v15, vcc, v1, v9, vcc
	s_mov_b64 s[42:43], 0
	s_branch .LBB10_544
.LBB10_543:                             ;   in Loop: Header=BB10_544 Depth=2
	s_or_b64 exec, exec, s[44:45]
	v_add_co_u32_e32 v0, vcc, 0xfffffc80, v14
	v_addc_co_u32_e32 v1, vcc, -1, v15, vcc
	flat_store_short_d16_hi v[0:1], v22 glc slc
	v_add_co_u32_e32 v0, vcc, 0xfffffd00, v14
	v_addc_co_u32_e32 v1, vcc, -1, v15, vcc
	flat_store_short_d16_hi v[0:1], v25 glc slc
	;; [unrolled: 3-line block ×6, first 2 shown]
	v_add_co_u32_e32 v0, vcc, s59, v14
	v_addc_co_u32_e32 v1, vcc, -1, v15, vcc
	v_add_co_u32_e32 v10, vcc, v10, v62
	v_addc_co_u32_e32 v11, vcc, v11, v26, vcc
	v_add_co_u32_e32 v12, vcc, v12, v62
	v_addc_co_u32_e32 v13, vcc, v13, v26, vcc
	v_sub_u32_e32 v19, v19, v30
	v_cmp_gt_i32_e32 vcc, 1, v19
	flat_store_short_d16_hi v[0:1], v28 glc slc
	flat_store_short_d16_hi v[14:15], v23 glc slc
	s_or_b64 s[42:43], vcc, s[42:43]
	v_add_co_u32_e32 v14, vcc, v14, v62
	v_addc_co_u32_e32 v15, vcc, v15, v26, vcc
	s_andn2_b64 exec, exec, s[42:43]
	s_cbranch_execz .LBB10_576
.LBB10_544:                             ;   Parent Loop BB10_362 Depth=1
                                        ; =>  This Inner Loop Header: Depth=2
	flat_load_ushort v55, v[10:11] offset:256 glc slc
	flat_load_ushort v45, v[10:11] offset:384 glc slc
	;; [unrolled: 1-line block ×12, first 2 shown]
	flat_load_ushort v0, v[12:13] glc slc
	flat_load_ushort v1, v[10:11] glc slc
	flat_load_ushort v25, v[10:11] offset:128 glc slc
	flat_load_ushort v59, v[12:13] offset:128 glc slc
                                        ; implicit-def: $vgpr22
	s_waitcnt vmcnt(0) lgkmcnt(0)
	v_lshlrev_b32_e32 v0, 16, v0
	v_lshlrev_b32_e32 v4, 16, v1
	v_pk_add_f32 v[16:17], v[0:1], v[4:5] op_sel_hi:[0,1]
	v_and_b32_e32 v0, 0x7f800000, v16
	v_cmp_ne_u32_e32 vcc, s61, v0
	s_and_saveexec_b64 s[44:45], vcc
	s_xor_b64 vcc, exec, s[44:45]
; %bb.545:                              ;   in Loop: Header=BB10_544 Depth=2
	v_bfe_u32 v0, v16, 16, 1
	v_add3_u32 v22, v16, v0, s63
                                        ; implicit-def: $vgpr16_vgpr17
; %bb.546:                              ;   in Loop: Header=BB10_544 Depth=2
	s_andn2_saveexec_b64 s[44:45], vcc
; %bb.547:                              ;   in Loop: Header=BB10_544 Depth=2
	v_or_b32_e32 v0, 0x10000, v16
	v_cmp_eq_u32_sdwa vcc, v16, v51 src0_sel:WORD_0 src1_sel:DWORD
	v_cndmask_b32_e32 v22, v0, v16, vcc
; %bb.548:                              ;   in Loop: Header=BB10_544 Depth=2
	s_or_b64 exec, exec, s[44:45]
	v_lshlrev_b32_e32 v0, 16, v59
	v_lshlrev_b32_e32 v4, 16, v25
	v_pk_add_f32 v[16:17], v[0:1], v[4:5] op_sel_hi:[0,1]
	v_and_b32_e32 v0, 0x7f800000, v16
	v_cmp_ne_u32_e32 vcc, s61, v0
                                        ; implicit-def: $vgpr25
	s_and_saveexec_b64 s[44:45], vcc
	s_xor_b64 vcc, exec, s[44:45]
; %bb.549:                              ;   in Loop: Header=BB10_544 Depth=2
	v_bfe_u32 v0, v16, 16, 1
	v_add3_u32 v25, v16, v0, s63
                                        ; implicit-def: $vgpr16_vgpr17
; %bb.550:                              ;   in Loop: Header=BB10_544 Depth=2
	s_andn2_saveexec_b64 s[44:45], vcc
; %bb.551:                              ;   in Loop: Header=BB10_544 Depth=2
	v_or_b32_e32 v0, 0x10000, v16
	v_cmp_eq_u32_sdwa vcc, v16, v51 src0_sel:WORD_0 src1_sel:DWORD
	v_cndmask_b32_e32 v25, v0, v16, vcc
; %bb.552:                              ;   in Loop: Header=BB10_544 Depth=2
	s_or_b64 exec, exec, s[44:45]
	v_lshlrev_b32_e32 v0, 16, v58
	v_lshlrev_b32_e32 v4, 16, v55
	v_pk_add_f32 v[16:17], v[0:1], v[4:5] op_sel_hi:[0,1]
	v_and_b32_e32 v0, 0x7f800000, v16
	v_cmp_ne_u32_e32 vcc, s61, v0
                                        ; implicit-def: $vgpr55
	s_and_saveexec_b64 s[44:45], vcc
	s_xor_b64 vcc, exec, s[44:45]
; %bb.553:                              ;   in Loop: Header=BB10_544 Depth=2
	v_bfe_u32 v0, v16, 16, 1
	v_add3_u32 v55, v16, v0, s63
                                        ; implicit-def: $vgpr16_vgpr17
; %bb.554:                              ;   in Loop: Header=BB10_544 Depth=2
	s_andn2_saveexec_b64 s[44:45], vcc
; %bb.555:                              ;   in Loop: Header=BB10_544 Depth=2
	v_or_b32_e32 v0, 0x10000, v16
	v_cmp_eq_u32_sdwa vcc, v16, v51 src0_sel:WORD_0 src1_sel:DWORD
	v_cndmask_b32_e32 v55, v0, v16, vcc
; %bb.556:                              ;   in Loop: Header=BB10_544 Depth=2
	s_or_b64 exec, exec, s[44:45]
	v_lshlrev_b32_e32 v0, 16, v57
	v_lshlrev_b32_e32 v4, 16, v45
	v_pk_add_f32 v[16:17], v[0:1], v[4:5] op_sel_hi:[0,1]
	v_and_b32_e32 v0, 0x7f800000, v16
	v_cmp_ne_u32_e32 vcc, s61, v0
                                        ; implicit-def: $vgpr45
	s_and_saveexec_b64 s[44:45], vcc
	s_xor_b64 vcc, exec, s[44:45]
; %bb.557:                              ;   in Loop: Header=BB10_544 Depth=2
	v_bfe_u32 v0, v16, 16, 1
	v_add3_u32 v45, v16, v0, s63
                                        ; implicit-def: $vgpr16_vgpr17
; %bb.558:                              ;   in Loop: Header=BB10_544 Depth=2
	s_andn2_saveexec_b64 s[44:45], vcc
; %bb.559:                              ;   in Loop: Header=BB10_544 Depth=2
	v_or_b32_e32 v0, 0x10000, v16
	v_cmp_eq_u32_sdwa vcc, v16, v51 src0_sel:WORD_0 src1_sel:DWORD
	v_cndmask_b32_e32 v45, v0, v16, vcc
; %bb.560:                              ;   in Loop: Header=BB10_544 Depth=2
	s_or_b64 exec, exec, s[44:45]
	v_lshlrev_b32_e32 v0, 16, v56
	v_lshlrev_b32_e32 v4, 16, v47
	v_pk_add_f32 v[16:17], v[0:1], v[4:5] op_sel_hi:[0,1]
	v_and_b32_e32 v0, 0x7f800000, v16
	v_cmp_ne_u32_e32 vcc, s61, v0
                                        ; implicit-def: $vgpr47
	s_and_saveexec_b64 s[44:45], vcc
	s_xor_b64 vcc, exec, s[44:45]
; %bb.561:                              ;   in Loop: Header=BB10_544 Depth=2
	v_bfe_u32 v0, v16, 16, 1
	v_add3_u32 v47, v16, v0, s63
                                        ; implicit-def: $vgpr16_vgpr17
; %bb.562:                              ;   in Loop: Header=BB10_544 Depth=2
	s_andn2_saveexec_b64 s[44:45], vcc
; %bb.563:                              ;   in Loop: Header=BB10_544 Depth=2
	v_or_b32_e32 v0, 0x10000, v16
	v_cmp_eq_u32_sdwa vcc, v16, v51 src0_sel:WORD_0 src1_sel:DWORD
	v_cndmask_b32_e32 v47, v0, v16, vcc
; %bb.564:                              ;   in Loop: Header=BB10_544 Depth=2
	s_or_b64 exec, exec, s[44:45]
	v_lshlrev_b32_e32 v0, 16, v46
	v_lshlrev_b32_e32 v4, 16, v44
	v_pk_add_f32 v[16:17], v[0:1], v[4:5] op_sel_hi:[0,1]
	v_and_b32_e32 v0, 0x7f800000, v16
	v_cmp_ne_u32_e32 vcc, s61, v0
                                        ; implicit-def: $vgpr44
	s_and_saveexec_b64 s[44:45], vcc
	s_xor_b64 vcc, exec, s[44:45]
; %bb.565:                              ;   in Loop: Header=BB10_544 Depth=2
	v_bfe_u32 v0, v16, 16, 1
	v_add3_u32 v44, v16, v0, s63
                                        ; implicit-def: $vgpr16_vgpr17
; %bb.566:                              ;   in Loop: Header=BB10_544 Depth=2
	s_andn2_saveexec_b64 s[44:45], vcc
; %bb.567:                              ;   in Loop: Header=BB10_544 Depth=2
	v_or_b32_e32 v0, 0x10000, v16
	v_cmp_eq_u32_sdwa vcc, v16, v51 src0_sel:WORD_0 src1_sel:DWORD
	v_cndmask_b32_e32 v44, v0, v16, vcc
; %bb.568:                              ;   in Loop: Header=BB10_544 Depth=2
	s_or_b64 exec, exec, s[44:45]
	v_lshlrev_b32_e32 v0, 16, v29
	v_lshlrev_b32_e32 v4, 16, v28
	v_pk_add_f32 v[16:17], v[0:1], v[4:5] op_sel_hi:[0,1]
	v_and_b32_e32 v0, 0x7f800000, v16
	v_cmp_ne_u32_e32 vcc, s61, v0
                                        ; implicit-def: $vgpr28
	s_and_saveexec_b64 s[44:45], vcc
	s_xor_b64 vcc, exec, s[44:45]
; %bb.569:                              ;   in Loop: Header=BB10_544 Depth=2
	v_bfe_u32 v0, v16, 16, 1
	v_add3_u32 v28, v16, v0, s63
                                        ; implicit-def: $vgpr16_vgpr17
; %bb.570:                              ;   in Loop: Header=BB10_544 Depth=2
	s_andn2_saveexec_b64 s[44:45], vcc
; %bb.571:                              ;   in Loop: Header=BB10_544 Depth=2
	v_or_b32_e32 v0, 0x10000, v16
	v_cmp_eq_u32_sdwa vcc, v16, v51 src0_sel:WORD_0 src1_sel:DWORD
	v_cndmask_b32_e32 v28, v0, v16, vcc
; %bb.572:                              ;   in Loop: Header=BB10_544 Depth=2
	s_or_b64 exec, exec, s[44:45]
	v_lshlrev_b32_e32 v0, 16, v24
	v_lshlrev_b32_e32 v4, 16, v23
	v_pk_add_f32 v[16:17], v[0:1], v[4:5] op_sel_hi:[0,1]
	v_and_b32_e32 v0, 0x7f800000, v16
	v_cmp_ne_u32_e32 vcc, s61, v0
                                        ; implicit-def: $vgpr23
	s_and_saveexec_b64 s[44:45], vcc
	s_xor_b64 vcc, exec, s[44:45]
; %bb.573:                              ;   in Loop: Header=BB10_544 Depth=2
	v_bfe_u32 v0, v16, 16, 1
	v_add3_u32 v23, v16, v0, s63
                                        ; implicit-def: $vgpr16_vgpr17
; %bb.574:                              ;   in Loop: Header=BB10_544 Depth=2
	s_andn2_saveexec_b64 s[44:45], vcc
	s_cbranch_execz .LBB10_543
; %bb.575:                              ;   in Loop: Header=BB10_544 Depth=2
	v_or_b32_e32 v0, 0x10000, v16
	v_cmp_eq_u32_sdwa vcc, v16, v51 src0_sel:WORD_0 src1_sel:DWORD
	v_cndmask_b32_e32 v23, v0, v16, vcc
	s_branch .LBB10_543
.LBB10_576:                             ;   in Loop: Header=BB10_362 Depth=1
	s_or_b64 exec, exec, s[42:43]
	v_accvgpr_read_b32 v58, a1
	v_accvgpr_read_b32 v9, a8
	v_accvgpr_read_b32 v56, a20
.LBB10_577:                             ;   in Loop: Header=BB10_362 Depth=1
	s_or_b64 exec, exec, s[40:41]
	v_lshlrev_b32_e32 v10, 10, v21
	v_cmp_ne_u32_e32 vcc, v43, v10
	s_and_b64 exec, exec, vcc
	s_cbranch_execz .LBB10_585
; %bb.578:                              ;   in Loop: Header=BB10_362 Depth=1
	v_add_u32_e32 v0, v18, v20
	v_and_b32_e32 v0, 0xffffffc0, v0
	v_sub_u32_e32 v0, v18, v0
	v_lshlrev_b32_e32 v1, 6, v19
	v_sub_u32_e32 v0, v0, v1
	v_ashrrev_i32_e32 v1, 31, v0
	v_lshrrev_b32_e32 v1, 26, v1
	v_add_u32_e32 v1, v0, v1
	v_and_b32_e32 v4, 0x7fffffc0, v1
	v_sub_u32_e32 v0, v0, v4
	v_lshlrev_b32_e32 v1, 1, v1
	v_and_b32_e32 v1, 0xffffff80, v1
	v_lshlrev_b32_e32 v0, 1, v0
	v_add3_u32 v10, v1, v0, v10
	v_sub_u32_e32 v18, v43, v10
	v_cmp_lt_i32_e32 vcc, 1, v18
	s_and_b64 exec, exec, vcc
	s_cbranch_execz .LBB10_585
; %bb.579:                              ;   in Loop: Header=BB10_362 Depth=1
	s_trap 2
	ds_read_b128 v[4:7], v0
	v_add_u32_e32 v3, v10, v3
	ds_read_b64 v[0:1], v0
	v_ashrrev_i32_e32 v8, 31, v3
	s_mov_b64 s[40:41], 0
	s_waitcnt lgkmcnt(0)
	v_add_co_u32_e32 v10, vcc, v4, v3
	v_addc_co_u32_e32 v11, vcc, v5, v8, vcc
	v_add_co_u32_e32 v12, vcc, v6, v3
	v_addc_co_u32_e32 v13, vcc, v7, v8, vcc
	;; [unrolled: 2-line block ×3, first 2 shown]
	s_branch .LBB10_581
.LBB10_580:                             ;   in Loop: Header=BB10_581 Depth=2
	s_or_b64 exec, exec, s[42:43]
	v_add_co_u32_e32 v10, vcc, v10, v60
	v_addc_co_u32_e32 v11, vcc, v11, v2, vcc
	v_add_co_u32_e32 v12, vcc, v12, v60
	v_addc_co_u32_e32 v13, vcc, v13, v2, vcc
	v_sub_u32_e32 v18, v18, v56
	v_cmp_gt_i32_e32 vcc, 2, v18
	flat_store_short_d16_hi v[14:15], v3 glc slc
	s_or_b64 s[40:41], vcc, s[40:41]
	v_add_co_u32_e32 v14, vcc, v14, v60
	v_addc_co_u32_e32 v15, vcc, v15, v2, vcc
	s_andn2_b64 exec, exec, s[40:41]
	s_cbranch_execz .LBB10_585
.LBB10_581:                             ;   Parent Loop BB10_362 Depth=1
                                        ; =>  This Inner Loop Header: Depth=2
	flat_load_ushort v0, v[12:13] glc slc
	flat_load_ushort v1, v[10:11] glc slc
                                        ; implicit-def: $vgpr3
	s_waitcnt vmcnt(0) lgkmcnt(0)
	v_lshlrev_b32_e32 v0, 16, v0
	v_lshlrev_b32_e32 v4, 16, v1
	v_pk_add_f32 v[16:17], v[0:1], v[4:5] op_sel_hi:[0,1]
	v_and_b32_e32 v0, 0x7f800000, v16
	v_cmp_ne_u32_e32 vcc, s61, v0
	s_and_saveexec_b64 s[42:43], vcc
	s_xor_b64 vcc, exec, s[42:43]
; %bb.582:                              ;   in Loop: Header=BB10_581 Depth=2
	v_bfe_u32 v0, v16, 16, 1
	v_add3_u32 v3, v16, v0, s63
                                        ; implicit-def: $vgpr16_vgpr17
; %bb.583:                              ;   in Loop: Header=BB10_581 Depth=2
	s_andn2_saveexec_b64 s[42:43], vcc
	s_cbranch_execz .LBB10_580
; %bb.584:                              ;   in Loop: Header=BB10_581 Depth=2
	v_or_b32_e32 v0, 0x10000, v16
	v_cmp_eq_u32_sdwa vcc, v16, v51 src0_sel:WORD_0 src1_sel:DWORD
	v_cndmask_b32_e32 v3, v0, v16, vcc
	s_branch .LBB10_580
.LBB10_585:                             ;   in Loop: Header=BB10_362 Depth=1
	s_or_b64 exec, exec, s[18:19]
	v_cmp_ne_u32_e64 s[18:19], 0, v50
.LBB10_586:                             ;   in Loop: Header=BB10_362 Depth=1
	s_and_saveexec_b64 s[40:41], s[10:11]
	s_cbranch_execz .LBB10_605
; %bb.587:                              ;   in Loop: Header=BB10_362 Depth=1
	s_and_saveexec_b64 vcc, s[28:29]
	s_xor_b64 s[42:43], exec, vcc
	s_cbranch_execz .LBB10_602
; %bb.588:                              ;   in Loop: Header=BB10_362 Depth=1
	s_and_saveexec_b64 s[44:45], s[12:13]
	s_cbranch_execz .LBB10_601
; %bb.589:                              ;   in Loop: Header=BB10_362 Depth=1
	s_mov_b64 s[48:49], exec
	v_mbcnt_lo_u32_b32 v0, s48, 0
	v_mbcnt_hi_u32_b32 v0, s49, v0
	v_cmp_eq_u32_e32 vcc, 0, v0
	s_waitcnt vmcnt(0) lgkmcnt(0)
	buffer_wbinvl1_vol
	s_and_saveexec_b64 s[46:47], vcc
	s_cbranch_execz .LBB10_591
; %bb.590:                              ;   in Loop: Header=BB10_362 Depth=1
	s_bcnt1_i32_b64 vcc_lo, s[48:49]
	v_mov_b32_e32 v50, vcc_lo
	ds_add_u64 v0, v[50:51]
	s_trap 2
.LBB10_591:                             ;   in Loop: Header=BB10_362 Depth=1
	s_or_b64 exec, exec, s[46:47]
	s_trap 2
	ds_read_b64 v[0:1], v0
	v_add_co_u32_e32 v38, vcc, v38, v30
	v_addc_co_u32_e32 v39, vcc, 0, v39, vcc
	s_waitcnt lgkmcnt(0)
	v_cmp_lt_u64_e32 vcc, v[0:1], v[38:39]
	s_and_saveexec_b64 s[46:47], vcc
	s_cbranch_execz .LBB10_600
; %bb.592:                              ;   in Loop: Header=BB10_362 Depth=1
	s_mov_b32 s65, 0
	s_mov_b64 s[48:49], 0
                                        ; implicit-def: $sgpr50_sgpr51
                                        ; implicit-def: $sgpr52_sgpr53
	s_branch .LBB10_594
.LBB10_593:                             ;   in Loop: Header=BB10_594 Depth=2
	s_or_b64 exec, exec, s[56:57]
	s_and_b64 vcc, exec, vcc
	s_or_b64 s[48:49], vcc, s[48:49]
	s_andn2_b64 vcc, s[50:51], exec
	s_and_b64 s[50:51], s[52:53], exec
	s_or_b64 s[50:51], vcc, s[50:51]
	s_andn2_b64 exec, exec, s[48:49]
	s_cbranch_execz .LBB10_598
.LBB10_594:                             ;   Parent Loop BB10_362 Depth=1
                                        ; =>  This Inner Loop Header: Depth=2
	s_add_i32 s65, s65, 1
	s_cmpk_lg_i32 s65, 0x2710
	s_cselect_b64 s[54:55], -1, 0
	s_and_b64 vcc, exec, s[54:55]
                                        ; implicit-def: $sgpr56_sgpr57
	s_cbranch_vccnz .LBB10_596
; %bb.595:                              ;   in Loop: Header=BB10_594 Depth=2
	s_trap 2
	ds_read_b64 v[0:1], v0
	s_andn2_b64 s[54:55], s[54:55], exec
	s_mov_b32 s65, 0
	s_mov_b64 s[56:57], -1
	s_waitcnt lgkmcnt(0)
	flat_load_dword v0, v[0:1] glc
	s_waitcnt vmcnt(0) lgkmcnt(0)
	buffer_invl2
	buffer_wbinvl1_vol
	v_cmp_eq_u32_e32 vcc, 0, v0
	s_and_b64 vcc, vcc, exec
	s_or_b64 s[54:55], s[54:55], vcc
.LBB10_596:                             ;   in Loop: Header=BB10_594 Depth=2
	s_andn2_b64 s[52:53], s[52:53], exec
	s_and_b64 s[56:57], s[56:57], exec
	s_mov_b64 vcc, -1
	s_or_b64 s[52:53], s[52:53], s[56:57]
	s_and_saveexec_b64 s[56:57], s[54:55]
	s_cbranch_execz .LBB10_593
; %bb.597:                              ;   in Loop: Header=BB10_594 Depth=2
	s_sleep 1
	s_trap 2
	ds_read_b64 v[0:1], v0
	s_andn2_b64 s[52:53], s[52:53], exec
	s_waitcnt lgkmcnt(0)
	v_cmp_ge_u64_e32 vcc, v[0:1], v[38:39]
	s_orn2_b64 vcc, vcc, exec
	s_branch .LBB10_593
.LBB10_598:                             ;   in Loop: Header=BB10_362 Depth=1
	s_or_b64 exec, exec, s[48:49]
	s_and_saveexec_b64 vcc, s[50:51]
	s_xor_b64 vcc, exec, vcc
	s_cbranch_execz .LBB10_600
; %bb.599:                              ;   in Loop: Header=BB10_362 Depth=1
	v_mov_b32_e32 v0, 1
	ds_write_b32 v0, v0
	s_trap 2
.LBB10_600:                             ;   in Loop: Header=BB10_362 Depth=1
	s_or_b64 exec, exec, s[46:47]
	;;#ASMSTART
	s_wakeup
	;;#ASMEND
.LBB10_601:                             ;   in Loop: Header=BB10_362 Depth=1
	s_or_b64 exec, exec, s[44:45]
.LBB10_602:                             ;   in Loop: Header=BB10_362 Depth=1
	s_andn2_saveexec_b64 vcc, s[42:43]
	s_cbranch_execz .LBB10_604
; %bb.603:                              ;   in Loop: Header=BB10_362 Depth=1
	s_waitcnt vmcnt(0) lgkmcnt(0)
	buffer_wbinvl1_vol
	s_barrier
.LBB10_604:                             ;   in Loop: Header=BB10_362 Depth=1
	s_or_b64 exec, exec, vcc
.LBB10_605:                             ;   in Loop: Header=BB10_362 Depth=1
	s_or_b64 exec, exec, s[40:41]
	v_and_b32_e32 v0, 16, v54
	v_cmp_ne_u32_e32 vcc, 0, v0
	s_and_b64 vcc, vcc, s[18:19]
	s_and_saveexec_b64 s[18:19], vcc
	s_cbranch_execz .LBB10_607
; %bb.606:                              ;   in Loop: Header=BB10_362 Depth=1
	s_waitcnt vmcnt(0) lgkmcnt(0)
	buffer_wbinvl1_vol
.LBB10_607:                             ;   in Loop: Header=BB10_362 Depth=1
	s_or_b64 exec, exec, s[18:19]
	v_and_b32_e32 v0, 32, v54
	v_cmp_ne_u32_e32 vcc, 0, v0
	s_and_saveexec_b64 s[18:19], vcc
	s_cbranch_execz .LBB10_609
; %bb.608:                              ;   in Loop: Header=BB10_362 Depth=1
	v_accvgpr_read_b32 v4, a10
	v_accvgpr_read_b32 v6, a12
	v_accvgpr_read_b32 v7, a13
	v_add_co_u32_e32 v6, vcc, 1, v6
	v_addc_co_u32_e32 v7, vcc, 0, v7, vcc
	v_accvgpr_read_b32 v5, a11
	v_accvgpr_write_b32 a13, v7
	v_accvgpr_write_b32 a12, v6
	;; [unrolled: 1-line block ×4, first 2 shown]
	flat_store_dwordx2 v[32:33], v[6:7]
.LBB10_609:                             ;   in Loop: Header=BB10_362 Depth=1
	s_or_b64 exec, exec, s[18:19]
	v_mov_b32_e32 v3, v61
.LBB10_610:                             ;   in Loop: Header=BB10_362 Depth=1
	s_or_b64 exec, exec, s[38:39]
	s_and_saveexec_b64 s[38:39], s[36:37]
	s_cbranch_execz .LBB10_361
; %bb.611:                              ;   in Loop: Header=BB10_362 Depth=1
	v_and_b32_e32 v0, 4, v54
	v_cmp_ne_u32_e32 vcc, 0, v0
	s_mov_b64 s[36:37], -1
	s_and_saveexec_b64 s[18:19], vcc
	s_cbranch_execnz .LBB10_614
; %bb.612:                              ;   in Loop: Header=BB10_362 Depth=1
	s_or_b64 exec, exec, s[18:19]
	s_xor_b64 s[18:19], s[36:37], -1
	s_and_saveexec_b64 s[36:37], s[18:19]
	s_cbranch_execnz .LBB10_625
.LBB10_613:                             ;   in Loop: Header=BB10_362 Depth=1
	s_or_b64 exec, exec, s[36:37]
	s_and_saveexec_b64 s[18:19], s[10:11]
	s_cbranch_execnz .LBB10_634
	s_branch .LBB10_652
.LBB10_614:                             ;   in Loop: Header=BB10_362 Depth=1
	v_accvgpr_read_b32 v4, a10
	v_accvgpr_read_b32 v6, a12
	;; [unrolled: 1-line block ×3, first 2 shown]
	v_add_co_u32_e32 v10, vcc, 1, v6
	v_addc_co_u32_e32 v11, vcc, 0, v7, vcc
	v_cmp_lt_u64_e32 vcc, v[36:37], v[10:11]
	v_mov_b32_e32 v12, 1
	v_accvgpr_read_b32 v5, a11
	s_and_saveexec_b64 s[36:37], vcc
	s_cbranch_execz .LBB10_624
; %bb.615:                              ;   in Loop: Header=BB10_362 Depth=1
	s_mov_b64 s[40:41], 0
	v_mov_b32_e32 v12, 0
                                        ; implicit-def: $sgpr42_sgpr43
	s_branch .LBB10_619
.LBB10_616:                             ;   in Loop: Header=BB10_619 Depth=2
	s_or_b64 exec, exec, s[50:51]
	v_mov_b32_e32 v13, 0
	s_orn2_b64 s[48:49], s[48:49], exec
.LBB10_617:                             ;   in Loop: Header=BB10_619 Depth=2
	s_or_b64 exec, exec, s[46:47]
	s_andn2_b64 vcc, s[42:43], exec
	s_and_b64 s[42:43], s[48:49], exec
	s_or_b64 s[42:43], vcc, s[42:43]
	v_mov_b32_e32 v12, v13
.LBB10_618:                             ;   in Loop: Header=BB10_619 Depth=2
	s_or_b64 exec, exec, s[44:45]
	s_waitcnt vmcnt(0) lgkmcnt(0)
	v_cmp_ge_u64_e32 vcc, v[36:37], v[10:11]
	s_xor_b64 s[44:45], s[42:43], -1
	s_or_b64 vcc, s[44:45], vcc
	s_and_b64 vcc, exec, vcc
	s_or_b64 s[40:41], vcc, s[40:41]
	s_andn2_b64 exec, exec, s[40:41]
	s_cbranch_execz .LBB10_623
.LBB10_619:                             ;   Parent Loop BB10_362 Depth=1
                                        ; =>  This Inner Loop Header: Depth=2
	s_sleep 1
	flat_load_dwordx2 v[36:37], v[32:33] glc
	v_and_b32_e32 v0, 64, v54
	v_cmp_eq_u32_e32 vcc, 0, v0
	s_andn2_b64 s[42:43], s[42:43], exec
	s_and_saveexec_b64 s[44:45], vcc
	s_cbranch_execz .LBB10_618
; %bb.620:                              ;   in Loop: Header=BB10_619 Depth=2
	v_add_u32_e32 v13, 1, v12
	v_cmp_lt_i32_e32 vcc, s60, v12
	s_mov_b64 s[48:49], -1
	s_and_saveexec_b64 s[46:47], vcc
	s_cbranch_execz .LBB10_617
; %bb.621:                              ;   in Loop: Header=BB10_619 Depth=2
	s_trap 2
	ds_read_b64 v[0:1], v0
	s_waitcnt vmcnt(0) lgkmcnt(0)
	flat_load_dword v12, v[0:1] glc
	s_waitcnt vmcnt(0) lgkmcnt(0)
	buffer_invl2
	buffer_wbinvl1_vol
	v_cmp_ne_u32_e32 vcc, 0, v12
	s_and_saveexec_b64 s[50:51], vcc
	s_cbranch_execz .LBB10_616
; %bb.622:                              ;   in Loop: Header=BB10_619 Depth=2
	v_or_b32_e32 v54, 64, v54
	s_xor_b64 s[48:49], exec, -1
	ds_write_b32 v0, v12
	s_trap 2
	s_branch .LBB10_616
.LBB10_623:                             ;   in Loop: Header=BB10_362 Depth=1
	s_or_b64 exec, exec, s[40:41]
	v_and_b32_e32 v12, 4, v54
.LBB10_624:                             ;   in Loop: Header=BB10_362 Depth=1
	s_or_b64 exec, exec, s[36:37]
	v_cmp_eq_u32_e32 vcc, 0, v12
	s_orn2_b64 s[36:37], vcc, exec
	;;#ASMSTART
	s_wakeup
	;;#ASMEND
	s_or_b64 exec, exec, s[18:19]
	s_xor_b64 s[18:19], s[36:37], -1
	s_and_saveexec_b64 s[36:37], s[18:19]
	s_cbranch_execz .LBB10_613
.LBB10_625:                             ;   in Loop: Header=BB10_362 Depth=1
	v_accvgpr_read_b32 v4, a10
	v_and_b32_e32 v0, 0x100, v54
	v_accvgpr_read_b32 v6, a12
	v_cmp_ne_u32_e32 vcc, 0, v0
	v_and_b32_e32 v14, 7, v6
	s_mov_b64 s[18:19], -1
	v_accvgpr_read_b32 v5, a11
	v_accvgpr_read_b32 v7, a13
                                        ; implicit-def: $vgpr10_vgpr11
	s_and_saveexec_b64 s[40:41], vcc
	s_cbranch_execz .LBB10_629
; %bb.626:                              ;   in Loop: Header=BB10_362 Depth=1
	v_accvgpr_read_b32 v4, a10
	v_accvgpr_read_b32 v5, a11
	v_mad_u64_u32 v[12:13], s[18:19], v14, 24, v[4:5]
	flat_load_dword v0, v[12:13]
	v_accvgpr_read_b32 v6, a12
	v_accvgpr_read_b32 v7, a13
                                        ; implicit-def: $vgpr10_vgpr11
	s_waitcnt vmcnt(0) lgkmcnt(0)
	v_cmp_ne_u32_e32 vcc, 1, v0
	v_cmp_eq_u32_e64 s[18:19], 1, v0
	s_and_saveexec_b64 s[42:43], s[18:19]
	s_cbranch_execz .LBB10_628
; %bb.627:                              ;   in Loop: Header=BB10_362 Depth=1
	flat_load_dword v0, v[12:13] offset:4 glc
	s_waitcnt vmcnt(0) lgkmcnt(0)
	v_ashrrev_i32_e32 v1, 31, v0
	v_lshrrev_b64 v[10:11], 1, v[0:1]
.LBB10_628:                             ;   in Loop: Header=BB10_362 Depth=1
	s_or_b64 exec, exec, s[42:43]
	s_orn2_b64 s[18:19], vcc, exec
.LBB10_629:                             ;   in Loop: Header=BB10_362 Depth=1
	s_or_b64 exec, exec, s[40:41]
	s_and_saveexec_b64 vcc, s[18:19]
; %bb.630:                              ;   in Loop: Header=BB10_362 Depth=1
	v_accvgpr_read_b32 v0, a14
	v_mad_i64_i32 v[10:11], s[18:19], v14, v0, 0
; %bb.631:                              ;   in Loop: Header=BB10_362 Depth=1
	s_or_b64 exec, exec, vcc
	v_lshlrev_b64 v[0:1], 1, v[10:11]
	v_accvgpr_read_b32 v4, a16
	v_accvgpr_read_b32 v5, a17
	v_add_co_u32_e32 v0, vcc, v4, v0
	v_addc_co_u32_e32 v1, vcc, v5, v1, vcc
	ds_write_b64 v0, v[0:1] offset:728
	v_and_b32_e32 v0, 0x2000, v54
	v_cmp_ne_u32_e32 vcc, 0, v0
	s_and_saveexec_b64 s[18:19], vcc
	s_cbranch_execz .LBB10_633
; %bb.632:                              ;   in Loop: Header=BB10_362 Depth=1
	ds_read_b64 v[0:1], v0 offset:584
	s_waitcnt lgkmcnt(0)
	v_add_co_u32_e32 v0, vcc, 1, v0
	v_addc_co_u32_e32 v1, vcc, 0, v1, vcc
	ds_write_b64 v0, v[0:1] offset:584
.LBB10_633:                             ;   in Loop: Header=BB10_362 Depth=1
	s_or_b64 exec, exec, s[18:19]
	v_accvgpr_read_b32 v4, a10
	v_accvgpr_read_b32 v6, a12
	;; [unrolled: 1-line block ×3, first 2 shown]
	v_add_co_u32_e32 v6, vcc, 1, v6
	v_addc_co_u32_e32 v7, vcc, 0, v7, vcc
	v_accvgpr_read_b32 v5, a11
	v_accvgpr_write_b32 a13, v7
	v_accvgpr_write_b32 a12, v6
	;; [unrolled: 1-line block ×4, first 2 shown]
	s_or_b64 exec, exec, s[36:37]
	s_and_saveexec_b64 s[18:19], s[10:11]
	s_cbranch_execz .LBB10_652
.LBB10_634:                             ;   in Loop: Header=BB10_362 Depth=1
	s_and_saveexec_b64 vcc, s[28:29]
	s_xor_b64 s[36:37], exec, vcc
	s_cbranch_execz .LBB10_649
; %bb.635:                              ;   in Loop: Header=BB10_362 Depth=1
	s_and_saveexec_b64 s[40:41], s[12:13]
	s_cbranch_execz .LBB10_648
; %bb.636:                              ;   in Loop: Header=BB10_362 Depth=1
	s_mov_b64 s[44:45], exec
	v_mbcnt_lo_u32_b32 v0, s44, 0
	v_mbcnt_hi_u32_b32 v0, s45, v0
	v_cmp_eq_u32_e32 vcc, 0, v0
	s_waitcnt vmcnt(0) lgkmcnt(0)
	buffer_wbinvl1_vol
	s_and_saveexec_b64 s[42:43], vcc
	s_cbranch_execz .LBB10_638
; %bb.637:                              ;   in Loop: Header=BB10_362 Depth=1
	s_bcnt1_i32_b64 vcc_lo, s[44:45]
	v_mov_b32_e32 v50, vcc_lo
	ds_add_u64 v0, v[50:51]
	s_trap 2
.LBB10_638:                             ;   in Loop: Header=BB10_362 Depth=1
	s_or_b64 exec, exec, s[42:43]
	s_trap 2
	ds_read_b64 v[0:1], v0
	v_add_co_u32_e32 v38, vcc, v38, v30
	v_addc_co_u32_e32 v39, vcc, 0, v39, vcc
	s_waitcnt lgkmcnt(0)
	v_cmp_lt_u64_e32 vcc, v[0:1], v[38:39]
	s_and_saveexec_b64 s[42:43], vcc
	s_cbranch_execz .LBB10_647
; %bb.639:                              ;   in Loop: Header=BB10_362 Depth=1
	s_mov_b32 s54, 0
	s_mov_b64 s[44:45], 0
                                        ; implicit-def: $sgpr46_sgpr47
                                        ; implicit-def: $sgpr48_sgpr49
	s_branch .LBB10_641
.LBB10_640:                             ;   in Loop: Header=BB10_641 Depth=2
	s_or_b64 exec, exec, s[52:53]
	s_and_b64 vcc, exec, vcc
	s_or_b64 s[44:45], vcc, s[44:45]
	s_andn2_b64 vcc, s[46:47], exec
	s_and_b64 s[46:47], s[48:49], exec
	s_or_b64 s[46:47], vcc, s[46:47]
	s_andn2_b64 exec, exec, s[44:45]
	s_cbranch_execz .LBB10_645
.LBB10_641:                             ;   Parent Loop BB10_362 Depth=1
                                        ; =>  This Inner Loop Header: Depth=2
	s_add_i32 s54, s54, 1
	s_cmpk_lg_i32 s54, 0x2710
	s_cselect_b64 s[50:51], -1, 0
	s_and_b64 vcc, exec, s[50:51]
                                        ; implicit-def: $sgpr52_sgpr53
	s_cbranch_vccnz .LBB10_643
; %bb.642:                              ;   in Loop: Header=BB10_641 Depth=2
	s_trap 2
	ds_read_b64 v[0:1], v0
	s_andn2_b64 s[50:51], s[50:51], exec
	s_mov_b32 s54, 0
	s_mov_b64 s[52:53], -1
	s_waitcnt lgkmcnt(0)
	flat_load_dword v0, v[0:1] glc
	s_waitcnt vmcnt(0) lgkmcnt(0)
	buffer_invl2
	buffer_wbinvl1_vol
	v_cmp_eq_u32_e32 vcc, 0, v0
	s_and_b64 vcc, vcc, exec
	s_or_b64 s[50:51], s[50:51], vcc
.LBB10_643:                             ;   in Loop: Header=BB10_641 Depth=2
	s_andn2_b64 s[48:49], s[48:49], exec
	s_and_b64 s[52:53], s[52:53], exec
	s_mov_b64 vcc, -1
	s_or_b64 s[48:49], s[48:49], s[52:53]
	s_and_saveexec_b64 s[52:53], s[50:51]
	s_cbranch_execz .LBB10_640
; %bb.644:                              ;   in Loop: Header=BB10_641 Depth=2
	s_sleep 1
	s_trap 2
	ds_read_b64 v[0:1], v0
	s_andn2_b64 s[48:49], s[48:49], exec
	s_waitcnt lgkmcnt(0)
	v_cmp_ge_u64_e32 vcc, v[0:1], v[38:39]
	s_orn2_b64 vcc, vcc, exec
	s_branch .LBB10_640
.LBB10_645:                             ;   in Loop: Header=BB10_362 Depth=1
	s_or_b64 exec, exec, s[44:45]
	s_and_saveexec_b64 vcc, s[46:47]
	s_xor_b64 vcc, exec, vcc
	s_cbranch_execz .LBB10_647
; %bb.646:                              ;   in Loop: Header=BB10_362 Depth=1
	v_mov_b32_e32 v0, 1
	ds_write_b32 v0, v0
	s_trap 2
.LBB10_647:                             ;   in Loop: Header=BB10_362 Depth=1
	s_or_b64 exec, exec, s[42:43]
	;;#ASMSTART
	s_wakeup
	;;#ASMEND
.LBB10_648:                             ;   in Loop: Header=BB10_362 Depth=1
	s_or_b64 exec, exec, s[40:41]
.LBB10_649:                             ;   in Loop: Header=BB10_362 Depth=1
	s_andn2_saveexec_b64 vcc, s[36:37]
	s_cbranch_execz .LBB10_651
; %bb.650:                              ;   in Loop: Header=BB10_362 Depth=1
	s_waitcnt vmcnt(0) lgkmcnt(0)
	buffer_wbinvl1_vol
	s_barrier
.LBB10_651:                             ;   in Loop: Header=BB10_362 Depth=1
	s_or_b64 exec, exec, vcc
.LBB10_652:                             ;   in Loop: Header=BB10_362 Depth=1
	s_or_b64 exec, exec, s[18:19]
	s_trap 2
	ds_read_b32 v0, v0
	v_sub_u32_e32 v1, v42, v3
	v_min_i32_e32 v1, v61, v1
	v_cmp_lt_i32_e32 vcc, 0, v1
	s_waitcnt lgkmcnt(0)
	v_readfirstlane_b32 s18, v0
	s_cmp_eq_u32 s18, 0
	s_cselect_b64 s[18:19], -1, 0
	v_and_b32_e32 v0, 16, v54
	s_and_b64 s[18:19], vcc, s[18:19]
	v_cmp_ne_u32_e32 vcc, 0, v0
	s_and_b64 vcc, vcc, s[18:19]
	s_and_saveexec_b64 s[18:19], vcc
	s_cbranch_execz .LBB10_654
; %bb.653:                              ;   in Loop: Header=BB10_362 Depth=1
	s_waitcnt vmcnt(0)
	buffer_wbinvl1_vol
.LBB10_654:                             ;   in Loop: Header=BB10_362 Depth=1
	s_or_b64 exec, exec, s[18:19]
	v_and_b32_e32 v0, 32, v54
	v_cmp_ne_u32_e32 vcc, 0, v0
	s_and_saveexec_b64 s[18:19], vcc
	s_cbranch_execz .LBB10_360
; %bb.655:                              ;   in Loop: Header=BB10_362 Depth=1
	v_accvgpr_read_b32 v4, a10
	v_accvgpr_read_b32 v6, a12
	;; [unrolled: 1-line block ×3, first 2 shown]
	v_add_co_u32_e32 v6, vcc, 1, v6
	v_addc_co_u32_e32 v7, vcc, 0, v7, vcc
	v_accvgpr_read_b32 v5, a11
	v_accvgpr_write_b32 a13, v7
	v_accvgpr_write_b32 a12, v6
	v_accvgpr_write_b32 a11, v5
	v_accvgpr_write_b32 a10, v4
	flat_store_dwordx2 v[32:33], v[6:7]
	s_branch .LBB10_360
.LBB10_656:
	s_or_b64 exec, exec, s[30:31]
	v_accvgpr_read_b32 v27, a5
	v_mov_b32_e32 v7, v48
	v_mov_b32_e32 v31, v49
	v_accvgpr_read_b32 v8, a0
	v_accvgpr_read_b32 v26, a4
.LBB10_657:
	s_or_b64 exec, exec, s[22:23]
.LBB10_658:
	s_or_b64 exec, exec, s[20:21]
                                        ; implicit-def: $vgpr52_vgpr53
                                        ; implicit-def: $vgpr42_vgpr43
                                        ; implicit-def: $agpr18_agpr19
                                        ; implicit-def: $agpr14
                                        ; implicit-def: $vgpr36_vgpr37
                                        ; implicit-def: $agpr16_agpr17
                                        ; implicit-def: $vgpr32_vgpr33
                                        ; implicit-def: $vgpr58
                                        ; implicit-def: $vgpr15
                                        ; implicit-def: $vgpr34_vgpr35
.LBB10_659:
	s_andn2_saveexec_b64 s[22:23], s[26:27]
	s_cbranch_execz .LBB10_832
; %bb.660:
	s_mov_b64 s[28:29], 0
	v_cmp_ne_u64_e32 vcc, 0, v[42:43]
	v_pk_mov_b32 v[38:39], 0, 0
	s_and_saveexec_b64 s[26:27], vcc
	s_cbranch_execz .LBB10_831
; %bb.661:
	v_and_b32_e32 v0, 63, v31
	v_cmp_eq_u32_e64 s[12:13], 0, v0
	v_ashrrev_i32_e32 v0, 31, v58
	v_lshrrev_b32_e32 v0, 26, v0
	v_add_u32_e32 v0, v58, v0
	v_and_b32_e32 v1, 0xffffffc0, v0
	v_sub_u32_e32 v1, v58, v1
	v_cmp_lt_i32_e64 s[16:17], v1, v15
	v_ashrrev_i32_e32 v15, 6, v0
	v_lshlrev_b32_e32 v0, 12, v15
	s_waitcnt vmcnt(0)
	v_lshrrev_b32_e32 v10, 6, v7
	v_lshl_add_u32 v14, v1, 4, v0
	v_mov_b32_e32 v0, 0xfffff000
	v_accvgpr_write_b32 a8, v26
	v_lshl_add_u32 v0, v10, 12, v0
	s_movk_i32 s18, 0x1000
	v_accvgpr_write_b32 a9, v27
	v_cmp_gt_i32_e64 s[14:15], 1, v1
	v_accvgpr_write_b32 a3, v1
	v_ashrrev_i32_e32 v1, 31, v0
	v_add_co_u32_e64 v26, s[18:19], s18, v0
	v_addc_co_u32_e64 v27, s[18:19], 0, v1, s[18:19]
	v_lshlrev_b32_e32 v30, 10, v10
	v_add_u32_e32 v0, 0xfffffc00, v30
	s_movk_i32 s18, 0x400
	v_accvgpr_write_b32 a1, v31
	v_ashrrev_i32_e32 v1, 31, v0
	v_add_co_u32_e64 v31, s[18:19], s18, v0
	v_addc_co_u32_e64 v55, s[18:19], 0, v1, s[18:19]
	v_mov_b32_e32 v0, 0xfffff800
	v_lshl_add_u32 v0, v10, 11, v0
	s_movk_i32 s18, 0x800
	v_ashrrev_i32_e32 v1, 31, v0
	v_add_co_u32_e64 v40, s[18:19], s18, v0
	v_addc_co_u32_e64 v41, s[18:19], 0, v1, s[18:19]
	v_lshlrev_b32_e32 v60, 7, v10
	v_add_u32_e32 v0, 0xffffff80, v60
	s_movk_i32 s18, 0x80
	v_ashrrev_i32_e32 v1, 31, v0
	v_add_co_u32_e64 v61, s[18:19], s18, v0
	s_lshr_b32 s6, s62, 27
	v_addc_co_u32_e64 v62, s[18:19], 0, v1, s[18:19]
	s_waitcnt lgkmcnt(0)
	v_accvgpr_read_b32 v0, a18
	s_add_i32 s62, s62, s6
	v_cmp_eq_u32_e32 vcc, 64, v7
	v_accvgpr_read_b32 v1, a19
	v_pk_mov_b32 v[16:17], 0, 0
	v_accvgpr_write_b32 a4, v42
	s_ashr_i32 s58, s62, 5
	v_cmp_ge_i32_e64 s[6:7], v58, v7
	v_cmp_ne_u32_e64 s[10:11], 64, v7
	v_accvgpr_write_b32 a2, v8
	v_cmp_ne_u32_sdwa s[30:31], v8, v7 src0_sel:WORD_0 src1_sel:DWORD
	v_accvgpr_write_b32 a0, v7
	v_mov_b32_e32 v13, 0
	v_ashrrev_i32_e32 v19, 31, v14
	v_cmp_ne_u64_e64 s[18:19], 0, v[0:1]
	s_movk_i32 s59, 0x270e
	v_mov_b32_e32 v18, 1
	s_xor_b64 s[34:35], vcc, -1
	v_lshlrev_b64 v[8:9], 1, v[52:53]
	v_pk_mov_b32 v[38:39], v[16:17], v[16:17] op_sel:[0,1]
	v_accvgpr_write_b32 a5, v43
	s_trap 2
	s_branch .LBB10_665
.LBB10_662:                             ;   in Loop: Header=BB10_665 Depth=1
	s_or_b64 exec, exec, vcc
	v_accvgpr_read_b32 v0, a10
	v_accvgpr_read_b32 v2, a12
	;; [unrolled: 1-line block ×3, first 2 shown]
	v_add_co_u32_e32 v2, vcc, 1, v2
	v_addc_co_u32_e32 v3, vcc, 0, v3, vcc
	v_accvgpr_read_b32 v1, a11
	v_accvgpr_write_b32 a13, v3
	v_accvgpr_write_b32 a12, v2
	;; [unrolled: 1-line block ×4, first 2 shown]
	flat_store_dwordx2 v[32:33], v[2:3]
.LBB10_663:                             ;   in Loop: Header=BB10_665 Depth=1
	s_or_b64 exec, exec, s[20:21]
.LBB10_664:                             ;   in Loop: Header=BB10_665 Depth=1
	s_or_b64 exec, exec, s[38:39]
	v_add_co_u32_e32 v16, vcc, v16, v34
	v_addc_co_u32_e32 v17, vcc, 0, v17, vcc
	v_cmp_ge_u64_e32 vcc, v[16:17], v[42:43]
	s_or_b64 s[28:29], vcc, s[28:29]
	s_andn2_b64 exec, exec, s[28:29]
	s_cbranch_execz .LBB10_830
.LBB10_665:                             ; =>This Loop Header: Depth=1
                                        ;     Child Loop BB10_674 Depth 2
                                        ;     Child Loop BB10_698 Depth 2
	;; [unrolled: 1-line block ×10, first 2 shown]
	v_sub_co_u32_e32 v0, vcc, v42, v16
	v_subb_co_u32_e32 v1, vcc, v43, v17, vcc
	v_cmp_lt_u64_e32 vcc, v[34:35], v[0:1]
	v_cndmask_b32_e64 v21, v1, 0, vcc
	v_cndmask_b32_e32 v20, v0, v34, vcc
	v_add_u32_e32 v0, 15, v20
	v_cmp_eq_u64_e32 vcc, 0, v[20:21]
	v_and_b32_e32 v0, 0x3ffffff0, v0
	s_or_b64 s[36:37], s[6:7], vcc
	v_max_i32_e32 v52, s58, v0
	s_xor_b64 s[20:21], s[36:37], -1
	v_mov_b32_e32 v11, 0
	s_and_saveexec_b64 s[38:39], s[20:21]
	s_cbranch_execz .LBB10_783
; %bb.666:                              ;   in Loop: Header=BB10_665 Depth=1
	s_and_saveexec_b64 s[20:21], s[4:5]
	s_cbranch_execz .LBB10_668
; %bb.667:                              ;   in Loop: Header=BB10_665 Depth=1
	s_trap 2
	ds_read_b64 v[0:1], v0
	v_mov_b32_e32 v12, v13
	s_waitcnt lgkmcnt(0)
	v_add_co_u32_e32 v2, vcc, v0, v8
	v_addc_co_u32_e32 v3, vcc, v1, v9, vcc
	v_lshlrev_b64 v[0:1], 1, v[16:17]
	v_add_co_u32_e32 v0, vcc, v2, v0
	v_addc_co_u32_e32 v1, vcc, v3, v1, vcc
	ds_write_b64 v0, v[0:1]
	ds_write_b64 v0, v[12:13]
.LBB10_668:                             ;   in Loop: Header=BB10_665 Depth=1
	s_or_b64 exec, exec, s[20:21]
	v_and_b32_e32 v0, 8, v54
	v_cmp_ne_u32_e32 vcc, 0, v0
	s_mov_b64 s[40:41], -1
	s_and_saveexec_b64 s[20:21], vcc
	s_cbranch_execz .LBB10_680
; %bb.669:                              ;   in Loop: Header=BB10_665 Depth=1
	v_add_co_u32_e32 v0, vcc, 8, v36
	v_accvgpr_read_b32 v2, a10
	v_addc_co_u32_e32 v1, vcc, 0, v37, vcc
	v_accvgpr_read_b32 v4, a12
	v_accvgpr_read_b32 v5, a13
	v_add_co_u32_e32 v22, vcc, 1, v4
	v_addc_co_u32_e32 v23, vcc, 0, v5, vcc
	v_cmp_lt_u64_e32 vcc, v[0:1], v[22:23]
	v_mov_b32_e32 v11, 1
	v_accvgpr_read_b32 v3, a11
	s_and_saveexec_b64 s[40:41], vcc
	s_cbranch_execz .LBB10_679
; %bb.670:                              ;   in Loop: Header=BB10_665 Depth=1
	s_mov_b64 s[42:43], 0
	v_mov_b32_e32 v11, 0
                                        ; implicit-def: $sgpr44_sgpr45
	s_branch .LBB10_674
.LBB10_671:                             ;   in Loop: Header=BB10_674 Depth=2
	s_or_b64 exec, exec, s[52:53]
	v_mov_b32_e32 v12, 0
	s_orn2_b64 s[50:51], s[50:51], exec
.LBB10_672:                             ;   in Loop: Header=BB10_674 Depth=2
	s_or_b64 exec, exec, s[48:49]
	s_andn2_b64 vcc, s[44:45], exec
	s_and_b64 s[44:45], s[50:51], exec
	s_or_b64 s[44:45], vcc, s[44:45]
	v_mov_b32_e32 v11, v12
.LBB10_673:                             ;   in Loop: Header=BB10_674 Depth=2
	s_or_b64 exec, exec, s[46:47]
	s_waitcnt vmcnt(0) lgkmcnt(0)
	v_add_co_u32_e32 v0, vcc, 8, v36
	v_addc_co_u32_e32 v1, vcc, 0, v37, vcc
	v_cmp_ge_u64_e32 vcc, v[0:1], v[22:23]
	s_xor_b64 s[46:47], s[44:45], -1
	s_or_b64 vcc, s[46:47], vcc
	s_and_b64 vcc, exec, vcc
	s_or_b64 s[42:43], vcc, s[42:43]
	s_andn2_b64 exec, exec, s[42:43]
	s_cbranch_execz .LBB10_678
.LBB10_674:                             ;   Parent Loop BB10_665 Depth=1
                                        ; =>  This Inner Loop Header: Depth=2
	s_sleep 1
	flat_load_dwordx2 v[36:37], v[32:33] glc
	v_and_b32_e32 v0, 64, v54
	v_cmp_eq_u32_e32 vcc, 0, v0
	s_andn2_b64 s[44:45], s[44:45], exec
	s_and_saveexec_b64 s[46:47], vcc
	s_cbranch_execz .LBB10_673
; %bb.675:                              ;   in Loop: Header=BB10_674 Depth=2
	v_add_u32_e32 v12, 1, v11
	v_cmp_lt_i32_e32 vcc, s59, v11
	s_mov_b64 s[50:51], -1
	s_and_saveexec_b64 s[48:49], vcc
	s_cbranch_execz .LBB10_672
; %bb.676:                              ;   in Loop: Header=BB10_674 Depth=2
	s_trap 2
	ds_read_b64 v[0:1], v0
	s_waitcnt vmcnt(0) lgkmcnt(0)
	flat_load_dword v11, v[0:1] glc
	s_waitcnt vmcnt(0) lgkmcnt(0)
	buffer_invl2
	buffer_wbinvl1_vol
	v_cmp_ne_u32_e32 vcc, 0, v11
	s_and_saveexec_b64 s[52:53], vcc
	s_cbranch_execz .LBB10_671
; %bb.677:                              ;   in Loop: Header=BB10_674 Depth=2
	v_or_b32_e32 v54, 64, v54
	s_xor_b64 s[50:51], exec, -1
	ds_write_b32 v0, v11
	s_trap 2
	s_branch .LBB10_671
.LBB10_678:                             ;   in Loop: Header=BB10_665 Depth=1
	s_or_b64 exec, exec, s[42:43]
	v_and_b32_e32 v11, 8, v54
.LBB10_679:                             ;   in Loop: Header=BB10_665 Depth=1
	s_or_b64 exec, exec, s[40:41]
	v_cmp_eq_u32_e32 vcc, 0, v11
	s_orn2_b64 s[40:41], vcc, exec
	;;#ASMSTART
	s_wakeup
	;;#ASMEND
.LBB10_680:                             ;   in Loop: Header=BB10_665 Depth=1
	s_or_b64 exec, exec, s[20:21]
	s_xor_b64 s[20:21], s[40:41], -1
	v_min_u32_e32 v52, v52, v20
	s_and_saveexec_b64 s[40:41], s[20:21]
	s_cbranch_execz .LBB10_690
; %bb.681:                              ;   in Loop: Header=BB10_665 Depth=1
	v_and_b32_e32 v0, 0x100, v54
	v_cmp_ne_u32_e32 vcc, 0, v0
	v_accvgpr_read_b32 v0, a10
	v_accvgpr_read_b32 v2, a12
	v_and_b32_e32 v11, 7, v2
	s_mov_b64 s[20:21], -1
	v_accvgpr_read_b32 v1, a11
	v_accvgpr_read_b32 v3, a13
                                        ; implicit-def: $vgpr22_vgpr23
	s_and_saveexec_b64 s[42:43], vcc
	s_cbranch_execz .LBB10_685
; %bb.682:                              ;   in Loop: Header=BB10_665 Depth=1
	v_accvgpr_read_b32 v0, a10
	v_accvgpr_read_b32 v1, a11
	v_mad_u64_u32 v[24:25], s[20:21], v11, 24, v[0:1]
	flat_load_dword v0, v[24:25]
	v_lshlrev_b32_e32 v12, 1, v52
	v_accvgpr_read_b32 v2, a12
	v_accvgpr_read_b32 v3, a13
	flat_store_dwordx2 v[24:25], v[12:13] offset:8
                                        ; implicit-def: $vgpr22_vgpr23
	s_waitcnt vmcnt(0) lgkmcnt(0)
	v_cmp_ne_u32_e32 vcc, 1, v0
	v_cmp_eq_u32_e64 s[20:21], 1, v0
	s_and_saveexec_b64 s[44:45], s[20:21]
	s_cbranch_execz .LBB10_684
; %bb.683:                              ;   in Loop: Header=BB10_665 Depth=1
	flat_load_dword v0, v[24:25] offset:4 glc
	s_waitcnt vmcnt(0) lgkmcnt(0)
	v_ashrrev_i32_e32 v1, 31, v0
	v_lshrrev_b64 v[22:23], 1, v[0:1]
.LBB10_684:                             ;   in Loop: Header=BB10_665 Depth=1
	s_or_b64 exec, exec, s[44:45]
	s_orn2_b64 s[20:21], vcc, exec
.LBB10_685:                             ;   in Loop: Header=BB10_665 Depth=1
	s_or_b64 exec, exec, s[42:43]
	s_and_saveexec_b64 vcc, s[20:21]
; %bb.686:                              ;   in Loop: Header=BB10_665 Depth=1
	v_accvgpr_read_b32 v0, a14
	v_mad_i64_i32 v[22:23], s[20:21], v11, v0, 0
; %bb.687:                              ;   in Loop: Header=BB10_665 Depth=1
	s_or_b64 exec, exec, vcc
	v_lshlrev_b64 v[0:1], 1, v[22:23]
	v_accvgpr_read_b32 v2, a16
	v_accvgpr_read_b32 v3, a17
	v_add_co_u32_e32 v0, vcc, v2, v0
	v_addc_co_u32_e32 v1, vcc, v3, v1, vcc
	ds_write_b64 v0, v[0:1] offset:784
	v_and_b32_e32 v0, 0x2000, v54
	v_cmp_ne_u32_e32 vcc, 0, v0
	s_and_saveexec_b64 s[20:21], vcc
	s_cbranch_execz .LBB10_689
; %bb.688:                              ;   in Loop: Header=BB10_665 Depth=1
	ds_read_b64 v[0:1], v0 offset:584
	s_waitcnt lgkmcnt(0)
	v_add_co_u32_e32 v0, vcc, 1, v0
	v_addc_co_u32_e32 v1, vcc, 0, v1, vcc
	ds_write_b64 v0, v[0:1] offset:584
.LBB10_689:                             ;   in Loop: Header=BB10_665 Depth=1
	s_or_b64 exec, exec, s[20:21]
	v_accvgpr_read_b32 v0, a10
	v_accvgpr_read_b32 v2, a12
	;; [unrolled: 1-line block ×3, first 2 shown]
	v_add_co_u32_e32 v2, vcc, 1, v2
	v_addc_co_u32_e32 v3, vcc, 0, v3, vcc
	v_accvgpr_read_b32 v1, a11
	v_accvgpr_write_b32 a13, v3
	v_accvgpr_write_b32 a12, v2
	;; [unrolled: 1-line block ×4, first 2 shown]
.LBB10_690:                             ;   in Loop: Header=BB10_665 Depth=1
	s_or_b64 exec, exec, s[40:41]
	s_and_saveexec_b64 s[20:21], s[10:11]
	s_cbranch_execz .LBB10_709
; %bb.691:                              ;   in Loop: Header=BB10_665 Depth=1
	s_and_saveexec_b64 vcc, s[30:31]
	s_xor_b64 s[40:41], exec, vcc
	s_cbranch_execz .LBB10_706
; %bb.692:                              ;   in Loop: Header=BB10_665 Depth=1
	s_and_saveexec_b64 s[42:43], s[12:13]
	s_cbranch_execz .LBB10_705
; %bb.693:                              ;   in Loop: Header=BB10_665 Depth=1
	s_mov_b64 s[46:47], exec
	v_mbcnt_lo_u32_b32 v0, s46, 0
	v_mbcnt_hi_u32_b32 v0, s47, v0
	v_cmp_eq_u32_e32 vcc, 0, v0
	s_waitcnt vmcnt(0) lgkmcnt(0)
	buffer_wbinvl1_vol
	s_and_saveexec_b64 s[44:45], vcc
	s_cbranch_execz .LBB10_695
; %bb.694:                              ;   in Loop: Header=BB10_665 Depth=1
	s_bcnt1_i32_b64 vcc_lo, s[46:47]
	v_mov_b32_e32 v12, vcc_lo
	ds_add_u64 v0, v[12:13]
	s_trap 2
.LBB10_695:                             ;   in Loop: Header=BB10_665 Depth=1
	s_or_b64 exec, exec, s[44:45]
	s_trap 2
	ds_read_b64 v[0:1], v0
	v_add_co_u32_e32 v38, vcc, v38, v10
	v_addc_co_u32_e32 v39, vcc, 0, v39, vcc
	s_waitcnt lgkmcnt(0)
	v_cmp_lt_u64_e32 vcc, v[0:1], v[38:39]
	s_and_saveexec_b64 s[44:45], vcc
	s_cbranch_execz .LBB10_704
; %bb.696:                              ;   in Loop: Header=BB10_665 Depth=1
	s_mov_b32 s56, 0
	s_mov_b64 s[46:47], 0
                                        ; implicit-def: $sgpr48_sgpr49
                                        ; implicit-def: $sgpr50_sgpr51
	s_branch .LBB10_698
.LBB10_697:                             ;   in Loop: Header=BB10_698 Depth=2
	s_or_b64 exec, exec, s[54:55]
	s_and_b64 vcc, exec, vcc
	s_or_b64 s[46:47], vcc, s[46:47]
	s_andn2_b64 vcc, s[48:49], exec
	s_and_b64 s[48:49], s[50:51], exec
	s_or_b64 s[48:49], vcc, s[48:49]
	s_andn2_b64 exec, exec, s[46:47]
	s_cbranch_execz .LBB10_702
.LBB10_698:                             ;   Parent Loop BB10_665 Depth=1
                                        ; =>  This Inner Loop Header: Depth=2
	s_add_i32 s56, s56, 1
	s_cmpk_lg_i32 s56, 0x2710
	s_cselect_b64 s[52:53], -1, 0
	s_and_b64 vcc, exec, s[52:53]
                                        ; implicit-def: $sgpr54_sgpr55
	s_cbranch_vccnz .LBB10_700
; %bb.699:                              ;   in Loop: Header=BB10_698 Depth=2
	s_trap 2
	ds_read_b64 v[0:1], v0
	s_andn2_b64 s[52:53], s[52:53], exec
	s_mov_b32 s56, 0
	s_mov_b64 s[54:55], -1
	s_waitcnt lgkmcnt(0)
	flat_load_dword v0, v[0:1] glc
	s_waitcnt vmcnt(0) lgkmcnt(0)
	buffer_invl2
	buffer_wbinvl1_vol
	v_cmp_eq_u32_e32 vcc, 0, v0
	s_and_b64 vcc, vcc, exec
	s_or_b64 s[52:53], s[52:53], vcc
.LBB10_700:                             ;   in Loop: Header=BB10_698 Depth=2
	s_andn2_b64 s[50:51], s[50:51], exec
	s_and_b64 s[54:55], s[54:55], exec
	s_mov_b64 vcc, -1
	s_or_b64 s[50:51], s[50:51], s[54:55]
	s_and_saveexec_b64 s[54:55], s[52:53]
	s_cbranch_execz .LBB10_697
; %bb.701:                              ;   in Loop: Header=BB10_698 Depth=2
	s_sleep 1
	s_trap 2
	ds_read_b64 v[0:1], v0
	s_andn2_b64 s[50:51], s[50:51], exec
	s_waitcnt lgkmcnt(0)
	v_cmp_ge_u64_e32 vcc, v[0:1], v[38:39]
	s_orn2_b64 vcc, vcc, exec
	s_branch .LBB10_697
.LBB10_702:                             ;   in Loop: Header=BB10_665 Depth=1
	s_or_b64 exec, exec, s[46:47]
	s_and_saveexec_b64 vcc, s[48:49]
	s_xor_b64 vcc, exec, vcc
	s_cbranch_execz .LBB10_704
; %bb.703:                              ;   in Loop: Header=BB10_665 Depth=1
	ds_write_b32 v0, v18
	s_trap 2
.LBB10_704:                             ;   in Loop: Header=BB10_665 Depth=1
	s_or_b64 exec, exec, s[44:45]
	;;#ASMSTART
	s_wakeup
	;;#ASMEND
.LBB10_705:                             ;   in Loop: Header=BB10_665 Depth=1
	s_or_b64 exec, exec, s[42:43]
.LBB10_706:                             ;   in Loop: Header=BB10_665 Depth=1
	s_andn2_saveexec_b64 vcc, s[40:41]
	s_cbranch_execz .LBB10_708
; %bb.707:                              ;   in Loop: Header=BB10_665 Depth=1
	s_waitcnt vmcnt(0) lgkmcnt(0)
	buffer_wbinvl1_vol
	s_barrier
.LBB10_708:                             ;   in Loop: Header=BB10_665 Depth=1
	s_or_b64 exec, exec, vcc
.LBB10_709:                             ;   in Loop: Header=BB10_665 Depth=1
	s_or_b64 exec, exec, s[20:21]
	s_trap 2
	ds_read_b32 v11, v0
	v_and_b32_e32 v0, 0x4000, v54
	v_cmp_ne_u32_e32 vcc, 0, v0
	s_and_b64 vcc, s[34:35], vcc
	s_and_saveexec_b64 s[20:21], vcc
	s_cbranch_execz .LBB10_728
; %bb.710:                              ;   in Loop: Header=BB10_665 Depth=1
	s_and_saveexec_b64 vcc, s[30:31]
	s_xor_b64 s[40:41], exec, vcc
	s_cbranch_execz .LBB10_725
; %bb.711:                              ;   in Loop: Header=BB10_665 Depth=1
	s_and_saveexec_b64 s[42:43], s[12:13]
	s_cbranch_execz .LBB10_724
; %bb.712:                              ;   in Loop: Header=BB10_665 Depth=1
	s_mov_b64 s[46:47], exec
	v_mbcnt_lo_u32_b32 v0, s46, 0
	v_mbcnt_hi_u32_b32 v0, s47, v0
	v_cmp_eq_u32_e32 vcc, 0, v0
	s_waitcnt vmcnt(0) lgkmcnt(0)
	buffer_wbinvl1_vol
	s_and_saveexec_b64 s[44:45], vcc
	s_cbranch_execz .LBB10_714
; %bb.713:                              ;   in Loop: Header=BB10_665 Depth=1
	s_bcnt1_i32_b64 vcc_lo, s[46:47]
	v_mov_b32_e32 v12, vcc_lo
	ds_add_u64 v0, v[12:13]
	s_trap 2
.LBB10_714:                             ;   in Loop: Header=BB10_665 Depth=1
	s_or_b64 exec, exec, s[44:45]
	s_trap 2
	ds_read_b64 v[0:1], v0
	v_add_co_u32_e32 v38, vcc, v38, v10
	v_addc_co_u32_e32 v39, vcc, 0, v39, vcc
	s_waitcnt lgkmcnt(0)
	v_cmp_lt_u64_e32 vcc, v[0:1], v[38:39]
	s_and_saveexec_b64 s[44:45], vcc
	s_cbranch_execz .LBB10_723
; %bb.715:                              ;   in Loop: Header=BB10_665 Depth=1
	s_mov_b32 s56, 0
	s_mov_b64 s[46:47], 0
                                        ; implicit-def: $sgpr48_sgpr49
                                        ; implicit-def: $sgpr50_sgpr51
	s_branch .LBB10_717
.LBB10_716:                             ;   in Loop: Header=BB10_717 Depth=2
	s_or_b64 exec, exec, s[54:55]
	s_and_b64 vcc, exec, vcc
	s_or_b64 s[46:47], vcc, s[46:47]
	s_andn2_b64 vcc, s[48:49], exec
	s_and_b64 s[48:49], s[50:51], exec
	s_or_b64 s[48:49], vcc, s[48:49]
	s_andn2_b64 exec, exec, s[46:47]
	s_cbranch_execz .LBB10_721
.LBB10_717:                             ;   Parent Loop BB10_665 Depth=1
                                        ; =>  This Inner Loop Header: Depth=2
	s_add_i32 s56, s56, 1
	s_cmpk_lg_i32 s56, 0x2710
	s_cselect_b64 s[52:53], -1, 0
	s_and_b64 vcc, exec, s[52:53]
                                        ; implicit-def: $sgpr54_sgpr55
	s_cbranch_vccnz .LBB10_719
; %bb.718:                              ;   in Loop: Header=BB10_717 Depth=2
	s_trap 2
	ds_read_b64 v[0:1], v0
	s_andn2_b64 s[52:53], s[52:53], exec
	s_mov_b32 s56, 0
	s_mov_b64 s[54:55], -1
	s_waitcnt lgkmcnt(0)
	flat_load_dword v0, v[0:1] glc
	s_waitcnt vmcnt(0) lgkmcnt(0)
	buffer_invl2
	buffer_wbinvl1_vol
	v_cmp_eq_u32_e32 vcc, 0, v0
	s_and_b64 vcc, vcc, exec
	s_or_b64 s[52:53], s[52:53], vcc
.LBB10_719:                             ;   in Loop: Header=BB10_717 Depth=2
	s_andn2_b64 s[50:51], s[50:51], exec
	s_and_b64 s[54:55], s[54:55], exec
	s_mov_b64 vcc, -1
	s_or_b64 s[50:51], s[50:51], s[54:55]
	s_and_saveexec_b64 s[54:55], s[52:53]
	s_cbranch_execz .LBB10_716
; %bb.720:                              ;   in Loop: Header=BB10_717 Depth=2
	s_sleep 1
	s_trap 2
	ds_read_b64 v[0:1], v0
	s_andn2_b64 s[50:51], s[50:51], exec
	s_waitcnt lgkmcnt(0)
	v_cmp_ge_u64_e32 vcc, v[0:1], v[38:39]
	s_orn2_b64 vcc, vcc, exec
	s_branch .LBB10_716
.LBB10_721:                             ;   in Loop: Header=BB10_665 Depth=1
	s_or_b64 exec, exec, s[46:47]
	s_and_saveexec_b64 vcc, s[48:49]
	s_xor_b64 vcc, exec, vcc
	s_cbranch_execz .LBB10_723
; %bb.722:                              ;   in Loop: Header=BB10_665 Depth=1
	ds_write_b32 v0, v18
	s_trap 2
.LBB10_723:                             ;   in Loop: Header=BB10_665 Depth=1
	s_or_b64 exec, exec, s[44:45]
	;;#ASMSTART
	s_wakeup
	;;#ASMEND
.LBB10_724:                             ;   in Loop: Header=BB10_665 Depth=1
	s_or_b64 exec, exec, s[42:43]
.LBB10_725:                             ;   in Loop: Header=BB10_665 Depth=1
	s_andn2_saveexec_b64 vcc, s[40:41]
	s_cbranch_execz .LBB10_727
; %bb.726:                              ;   in Loop: Header=BB10_665 Depth=1
	s_waitcnt vmcnt(0) lgkmcnt(0)
	buffer_wbinvl1_vol
	s_barrier
.LBB10_727:                             ;   in Loop: Header=BB10_665 Depth=1
	s_or_b64 exec, exec, vcc
.LBB10_728:                             ;   in Loop: Header=BB10_665 Depth=1
	s_or_b64 exec, exec, s[20:21]
	s_trap 2
	ds_read_b64 v[0:1], v0
	s_waitcnt lgkmcnt(0)
	v_readfirstlane_b32 s20, v0
	v_readfirstlane_b32 s21, v1
	s_cmp_eq_u64 s[20:21], 0
	s_cselect_b64 s[20:21], -1, 0
	s_or_b64 vcc, s[20:21], s[20:21]
	s_mov_b64 s[20:21], 0
	s_and_b64 vcc, exec, vcc
	s_cbranch_vccnz .LBB10_757
; %bb.729:                              ;   in Loop: Header=BB10_665 Depth=1
	s_mov_b64 s[20:21], -1
	s_and_saveexec_b64 s[40:41], s[14:15]
	s_cbranch_execz .LBB10_731
; %bb.730:                              ;   in Loop: Header=BB10_665 Depth=1
	ds_read_b32 v0, v0 offset:720
	s_waitcnt lgkmcnt(0)
	v_and_b32_e32 v0, 15, v0
	v_cmp_eq_u32_e32 vcc, 0, v0
	s_orn2_b64 s[20:21], vcc, exec
.LBB10_731:                             ;   in Loop: Header=BB10_665 Depth=1
	s_or_b64 exec, exec, s[40:41]
	s_and_saveexec_b64 s[40:41], s[16:17]
	s_cbranch_execz .LBB10_733
; %bb.732:                              ;   in Loop: Header=BB10_665 Depth=1
	ds_read_b32 v0, v0 offset:784
	s_waitcnt lgkmcnt(0)
	v_and_b32_e32 v0, 15, v0
	v_cmp_eq_u32_e32 vcc, 0, v0
	s_and_b64 vcc, s[20:21], vcc
	s_andn2_b64 s[20:21], s[20:21], exec
	s_and_b64 vcc, vcc, exec
	s_or_b64 s[20:21], s[20:21], vcc
.LBB10_733:                             ;   in Loop: Header=BB10_665 Depth=1
	s_or_b64 exec, exec, s[40:41]
	v_cmp_eq_u32_e32 vcc, 0, v11
	s_xor_b64 s[20:21], s[20:21], -1
	v_cndmask_b32_e32 v21, 0, v52, vcc
	v_cndmask_b32_e64 v0, 0, 1, s[20:21]
	v_mov_b32_e32 v29, 0
	v_lshlrev_b32_e32 v28, 1, v21
	s_mov_b64 s[42:43], -1
	;;#ASMSTART
	;;#ASMEND
	v_cmp_ne_u32_e32 vcc, 0, v0
	s_cbranch_vccz .LBB10_735
; %bb.734:                              ;   in Loop: Header=BB10_665 Depth=1
	v_mov_b32_e32 v53, v58
	v_mov_b32_e32 v12, v15
	s_and_saveexec_b64 s[20:21], s[42:43]
	s_cbranch_execnz .LBB10_748
	s_branch .LBB10_756
.LBB10_735:                             ;   in Loop: Header=BB10_665 Depth=1
	v_lshrrev_b32_e32 v12, 11, v21
	v_sub_u32_e32 v11, v12, v15
	v_cmp_lt_i32_e32 vcc, 0, v11
	s_and_saveexec_b64 s[20:21], vcc
	s_cbranch_execz .LBB10_739
; %bb.736:                              ;   in Loop: Header=BB10_665 Depth=1
	s_trap 2
	ds_read_b64 v[22:23], v0
	v_mov_b32_e32 v6, v58
	s_mov_b64 s[40:41], 0
	s_waitcnt lgkmcnt(0)
	v_pk_mov_b32 v[24:25], v[22:23], v[22:23] op_sel:[0,1]
.LBB10_737:                             ;   Parent Loop BB10_665 Depth=1
                                        ; =>  This Inner Loop Header: Depth=2
	v_add_co_u32_e32 v0, vcc, v14, v24
	v_addc_co_u32_e32 v1, vcc, v19, v25, vcc
	global_load_dwordx4 v[56:59], v[0:1], off glc slc
	global_load_dwordx4 v[42:45], v[0:1], off offset:1024 glc slc
	global_load_dwordx4 v[48:51], v[0:1], off offset:2048 glc slc
	s_nop 0
	global_load_dwordx4 v[0:3], v[0:1], off offset:3072 glc slc
	v_add_co_u32_e32 v4, vcc, v14, v22
	v_addc_co_u32_e32 v5, vcc, v19, v23, vcc
	v_add_co_u32_e32 v24, vcc, v24, v26
	v_addc_co_u32_e32 v25, vcc, v25, v27, vcc
	v_add_co_u32_e32 v22, vcc, v22, v26
	v_sub_u32_e32 v11, v11, v10
	v_addc_co_u32_e32 v23, vcc, v23, v27, vcc
	v_cmp_gt_i32_e32 vcc, 1, v11
	s_or_b64 s[40:41], vcc, s[40:41]
	s_waitcnt vmcnt(0)
	global_store_dwordx4 v[4:5], v[56:59], off glc slc
	s_waitcnt vmcnt(3)
	global_store_dwordx4 v[4:5], v[42:45], off offset:1024 glc slc
	s_waitcnt vmcnt(3)
	global_store_dwordx4 v[4:5], v[48:51], off offset:2048 glc slc
	;; [unrolled: 2-line block ×3, first 2 shown]
	s_andn2_b64 exec, exec, s[40:41]
	s_cbranch_execnz .LBB10_737
; %bb.738:                              ;   in Loop: Header=BB10_665 Depth=1
	s_or_b64 exec, exec, s[40:41]
	v_accvgpr_read_b32 v43, a5
	v_mov_b32_e32 v58, v6
	v_accvgpr_read_b32 v42, a4
.LBB10_739:                             ;   in Loop: Header=BB10_665 Depth=1
	s_or_b64 exec, exec, s[20:21]
	v_lshlrev_b32_e32 v24, 12, v12
	v_cmp_ne_u32_e32 vcc, v28, v24
	s_mov_b64 s[42:43], 0
	v_mov_b32_e32 v29, 0
                                        ; implicit-def: $vgpr53
                                        ; implicit-def: $vgpr12
	s_and_saveexec_b64 s[40:41], vcc
	s_cbranch_execz .LBB10_747
; %bb.740:                              ;   in Loop: Header=BB10_665 Depth=1
	v_lshlrev_b32_e32 v1, 6, v11
	v_accvgpr_read_b32 v2, a3
	v_sub_u32_e32 v1, v2, v1
	v_ashrrev_i32_e32 v2, 31, v1
	v_lshrrev_b32_e32 v2, 26, v2
	v_add_u32_e32 v2, v1, v2
	v_ashrrev_i32_e32 v3, 6, v2
	v_and_b32_e32 v2, 0xffffffc0, v2
	v_sub_u32_e32 v25, v1, v2
	v_sub_u32_e32 v0, v28, v24
	v_lshlrev_b32_e32 v1, 4, v25
	v_lshl_add_u32 v11, v3, 10, v1
	v_ashrrev_i32_e32 v1, 31, v0
	v_lshrrev_b32_e32 v1, 22, v1
	v_add_u32_e32 v1, v0, v1
	v_and_b32_e32 v46, 0xfffffc00, v1
	v_sub_u32_e32 v56, v0, v46
	v_ashrrev_i32_e32 v2, 10, v1
	v_cmp_lt_i32_e32 vcc, 15, v56
	v_sub_u32_e32 v29, v0, v11
	v_addc_co_u32_e64 v0, s[20:21], 0, v2, vcc
	v_sub_u32_e32 v47, v0, v3
	v_cmp_lt_i32_e64 s[20:21], 15, v29
	s_and_saveexec_b64 s[42:43], s[20:21]
	s_cbranch_execz .LBB10_744
; %bb.741:                              ;   in Loop: Header=BB10_665 Depth=1
	s_trap 2
	ds_read_b64 v[22:23], v0
	v_add_u32_e32 v12, v11, v24
	v_ashrrev_i32_e32 v11, 31, v12
	s_mov_b64 s[44:45], 0
.LBB10_742:                             ;   Parent Loop BB10_665 Depth=1
                                        ; =>  This Inner Loop Header: Depth=2
	s_waitcnt lgkmcnt(0)
	v_add_co_u32_e64 v4, s[20:21], v22, v12
	v_addc_co_u32_e64 v5, s[20:21], v23, v11, s[20:21]
	global_load_dwordx4 v[0:3], v[4:5], off glc slc
	v_add_co_u32_e64 v12, s[20:21], v12, v31
	v_sub_u32_e32 v29, v29, v30
	v_addc_co_u32_e64 v11, s[20:21], v11, v55, s[20:21]
	v_cmp_gt_i32_e64 s[20:21], 16, v29
	v_sub_u32_e32 v47, v47, v10
	s_or_b64 s[44:45], s[20:21], s[44:45]
	s_waitcnt vmcnt(0)
	global_store_dwordx4 v[4:5], v[0:3], off glc slc
	s_andn2_b64 exec, exec, s[44:45]
	s_cbranch_execnz .LBB10_742
; %bb.743:                              ;   in Loop: Header=BB10_665 Depth=1
	s_or_b64 exec, exec, s[44:45]
.LBB10_744:                             ;   in Loop: Header=BB10_665 Depth=1
	s_or_b64 exec, exec, s[42:43]
	v_and_b32_e32 v11, 14, v28
	v_cndmask_b32_e32 v28, v56, v11, vcc
	v_cmp_ne_u32_e64 s[20:21], 0, v28
	s_mov_b64 s[42:43], 0
	v_mov_b32_e32 v29, 0
                                        ; implicit-def: $vgpr53
                                        ; implicit-def: $vgpr12
	s_and_saveexec_b64 s[44:45], s[20:21]
	s_cbranch_execz .LBB10_746
; %bb.745:                              ;   in Loop: Header=BB10_665 Depth=1
	v_sub_u32_e32 v0, v56, v11
	v_cndmask_b32_e32 v0, 0, v0, vcc
	v_cmp_lt_i32_e32 vcc, 0, v47
	v_add3_u32 v29, v46, v24, v0
	v_cndmask_b32_e32 v0, 0, v10, vcc
	v_sub_u32_e32 v0, v0, v47
	v_lshl_add_u32 v53, v0, 6, v25
	v_ashrrev_i32_e32 v0, 31, v53
	v_lshrrev_b32_e32 v0, 26, v0
	v_add_u32_e32 v0, v53, v0
	s_mov_b64 s[42:43], exec
	v_ashrrev_i32_e32 v12, 6, v0
.LBB10_746:                             ;   in Loop: Header=BB10_665 Depth=1
	s_or_b64 exec, exec, s[44:45]
	s_and_b64 s[42:43], s[42:43], exec
.LBB10_747:                             ;   in Loop: Header=BB10_665 Depth=1
	s_or_b64 exec, exec, s[40:41]
	s_and_saveexec_b64 s[20:21], s[42:43]
	s_cbranch_execz .LBB10_756
.LBB10_748:                             ;   in Loop: Header=BB10_665 Depth=1
	v_ashrrev_i32_e32 v0, 31, v28
	v_lshrrev_b32_e32 v0, 21, v0
	v_add_u32_e32 v0, v28, v0
	v_ashrrev_i32_e32 v56, 11, v0
	v_sub_u32_e32 v46, v56, v12
	v_ashrrev_i32_e32 v0, 31, v53
	v_cmp_lt_i32_e32 vcc, 0, v46
	v_lshrrev_b32_e32 v47, 26, v0
	s_and_saveexec_b64 s[40:41], vcc
	s_cbranch_execz .LBB10_752
; %bb.749:                              ;   in Loop: Header=BB10_665 Depth=1
	s_trap 2
	ds_read_b64 v[22:23], v0
	v_add_u32_e32 v0, v53, v47
	v_and_b32_e32 v0, 0x7fffffc0, v0
	v_sub_u32_e32 v0, v53, v0
	v_lshlrev_b32_e32 v0, 1, v0
	v_lshlrev_b32_e32 v1, 11, v12
	v_accvgpr_write_b32 a21, v9
	v_add3_u32 v12, v0, v29, v1
	v_accvgpr_write_b32 a20, v8
	v_ashrrev_i32_e32 v11, 31, v12
	s_mov_b64 s[42:43], 0
	s_waitcnt lgkmcnt(0)
	v_pk_mov_b32 v[24:25], v[22:23], v[22:23] op_sel:[0,1]
.LBB10_750:                             ;   Parent Loop BB10_665 Depth=1
                                        ; =>  This Inner Loop Header: Depth=2
	v_add_co_u32_e32 v0, vcc, v12, v24
	v_addc_co_u32_e32 v1, vcc, v11, v25, vcc
	flat_load_ushort v2, v[0:1] glc slc
	flat_load_ushort v3, v[0:1] offset:128 glc slc
	flat_load_ushort v4, v[0:1] offset:256 glc slc
	;; [unrolled: 1-line block ×15, first 2 shown]
	v_add_co_u32_e32 v0, vcc, v12, v22
	v_addc_co_u32_e32 v1, vcc, v11, v23, vcc
	v_add_co_u32_e32 v24, vcc, v24, v40
	v_addc_co_u32_e32 v25, vcc, v25, v41, vcc
	v_add_co_u32_e32 v22, vcc, v22, v40
	v_sub_u32_e32 v46, v46, v10
	v_addc_co_u32_e32 v23, vcc, v23, v41, vcc
	v_cmp_gt_i32_e32 vcc, 1, v46
	s_or_b64 s[42:43], vcc, s[42:43]
	s_waitcnt vmcnt(0) lgkmcnt(0)
	flat_store_short v[0:1], v2 glc slc
	flat_store_short v[0:1], v3 offset:128 glc slc
	flat_store_short v[0:1], v4 offset:256 glc slc
	flat_store_short v[0:1], v5 offset:384 glc slc
	flat_store_short v[0:1], v6 offset:512 glc slc
	flat_store_short v[0:1], v7 offset:640 glc slc
	flat_store_short v[0:1], v8 offset:768 glc slc
	flat_store_short v[0:1], v9 offset:896 glc slc
	flat_store_short v[0:1], v48 offset:1024 glc slc
	flat_store_short v[0:1], v49 offset:1152 glc slc
	flat_store_short v[0:1], v50 offset:1280 glc slc
	flat_store_short v[0:1], v51 offset:1408 glc slc
	flat_store_short v[0:1], v42 offset:1536 glc slc
	flat_store_short v[0:1], v43 offset:1664 glc slc
	flat_store_short v[0:1], v44 offset:1792 glc slc
	flat_store_short v[0:1], v45 offset:1920 glc slc
	s_andn2_b64 exec, exec, s[42:43]
	s_cbranch_execnz .LBB10_750
; %bb.751:                              ;   in Loop: Header=BB10_665 Depth=1
	s_or_b64 exec, exec, s[42:43]
	v_accvgpr_read_b32 v43, a5
	v_accvgpr_read_b32 v8, a20
	;; [unrolled: 1-line block ×4, first 2 shown]
.LBB10_752:                             ;   in Loop: Header=BB10_665 Depth=1
	s_or_b64 exec, exec, s[40:41]
	v_lshlrev_b32_e32 v11, 11, v56
	v_cmp_ne_u32_e32 vcc, v28, v11
	s_and_b64 exec, exec, vcc
	s_cbranch_execz .LBB10_756
; %bb.753:                              ;   in Loop: Header=BB10_665 Depth=1
	v_add_u32_e32 v0, v53, v47
	v_and_b32_e32 v0, 0xffffffc0, v0
	v_sub_u32_e32 v0, v53, v0
	v_lshlrev_b32_e32 v1, 6, v46
	v_sub_u32_e32 v0, v0, v1
	v_ashrrev_i32_e32 v1, 31, v0
	v_lshrrev_b32_e32 v1, 26, v1
	v_add_u32_e32 v1, v0, v1
	v_and_b32_e32 v2, 0x7fffffc0, v1
	v_sub_u32_e32 v0, v0, v2
	v_lshlrev_b32_e32 v1, 1, v1
	v_and_b32_e32 v1, 0xffffff80, v1
	v_lshlrev_b32_e32 v0, 1, v0
	v_add3_u32 v11, v1, v0, v11
	v_sub_u32_e32 v24, v28, v11
	v_cmp_lt_i32_e32 vcc, 1, v24
	s_and_b64 exec, exec, vcc
	s_cbranch_execz .LBB10_756
; %bb.754:                              ;   in Loop: Header=BB10_665 Depth=1
	s_trap 2
	ds_read_b64 v[22:23], v0
	v_add_u32_e32 v12, v11, v29
	v_ashrrev_i32_e32 v11, 31, v12
	s_mov_b64 s[40:41], 0
.LBB10_755:                             ;   Parent Loop BB10_665 Depth=1
                                        ; =>  This Inner Loop Header: Depth=2
	s_waitcnt lgkmcnt(0)
	v_add_co_u32_e32 v0, vcc, v22, v12
	v_addc_co_u32_e32 v1, vcc, v23, v11, vcc
	flat_load_ushort v2, v[0:1] glc slc
	v_add_co_u32_e32 v12, vcc, v12, v61
	v_sub_u32_e32 v24, v24, v60
	v_addc_co_u32_e32 v11, vcc, v11, v62, vcc
	v_cmp_gt_i32_e32 vcc, 2, v24
	s_or_b64 s[40:41], vcc, s[40:41]
	s_waitcnt vmcnt(0) lgkmcnt(0)
	flat_store_short v[0:1], v2 glc slc
	s_andn2_b64 exec, exec, s[40:41]
	s_cbranch_execnz .LBB10_755
.LBB10_756:                             ;   in Loop: Header=BB10_665 Depth=1
	s_or_b64 exec, exec, s[20:21]
	v_cmp_ne_u32_e64 s[20:21], 0, v21
.LBB10_757:                             ;   in Loop: Header=BB10_665 Depth=1
	s_and_saveexec_b64 s[40:41], s[10:11]
	s_cbranch_execz .LBB10_776
; %bb.758:                              ;   in Loop: Header=BB10_665 Depth=1
	s_and_saveexec_b64 vcc, s[30:31]
	s_xor_b64 s[42:43], exec, vcc
	s_cbranch_execz .LBB10_773
; %bb.759:                              ;   in Loop: Header=BB10_665 Depth=1
	s_and_saveexec_b64 s[44:45], s[12:13]
	s_cbranch_execz .LBB10_772
; %bb.760:                              ;   in Loop: Header=BB10_665 Depth=1
	s_mov_b64 s[48:49], exec
	v_mbcnt_lo_u32_b32 v0, s48, 0
	v_mbcnt_hi_u32_b32 v0, s49, v0
	v_cmp_eq_u32_e32 vcc, 0, v0
	s_waitcnt vmcnt(0) lgkmcnt(0)
	buffer_wbinvl1_vol
	s_and_saveexec_b64 s[46:47], vcc
	s_cbranch_execz .LBB10_762
; %bb.761:                              ;   in Loop: Header=BB10_665 Depth=1
	s_bcnt1_i32_b64 vcc_lo, s[48:49]
	v_mov_b32_e32 v12, vcc_lo
	ds_add_u64 v0, v[12:13]
	s_trap 2
.LBB10_762:                             ;   in Loop: Header=BB10_665 Depth=1
	s_or_b64 exec, exec, s[46:47]
	s_trap 2
	ds_read_b64 v[0:1], v0
	v_add_co_u32_e32 v38, vcc, v38, v10
	v_addc_co_u32_e32 v39, vcc, 0, v39, vcc
	s_waitcnt lgkmcnt(0)
	v_cmp_lt_u64_e32 vcc, v[0:1], v[38:39]
	s_and_saveexec_b64 s[46:47], vcc
	s_cbranch_execz .LBB10_771
; %bb.763:                              ;   in Loop: Header=BB10_665 Depth=1
	s_mov_b32 s60, 0
	s_mov_b64 s[48:49], 0
                                        ; implicit-def: $sgpr50_sgpr51
                                        ; implicit-def: $sgpr52_sgpr53
	s_branch .LBB10_765
.LBB10_764:                             ;   in Loop: Header=BB10_765 Depth=2
	s_or_b64 exec, exec, s[56:57]
	s_and_b64 vcc, exec, vcc
	s_or_b64 s[48:49], vcc, s[48:49]
	s_andn2_b64 vcc, s[50:51], exec
	s_and_b64 s[50:51], s[52:53], exec
	s_or_b64 s[50:51], vcc, s[50:51]
	s_andn2_b64 exec, exec, s[48:49]
	s_cbranch_execz .LBB10_769
.LBB10_765:                             ;   Parent Loop BB10_665 Depth=1
                                        ; =>  This Inner Loop Header: Depth=2
	s_add_i32 s60, s60, 1
	s_cmpk_lg_i32 s60, 0x2710
	s_cselect_b64 s[54:55], -1, 0
	s_and_b64 vcc, exec, s[54:55]
                                        ; implicit-def: $sgpr56_sgpr57
	s_cbranch_vccnz .LBB10_767
; %bb.766:                              ;   in Loop: Header=BB10_765 Depth=2
	s_trap 2
	ds_read_b64 v[0:1], v0
	s_andn2_b64 s[54:55], s[54:55], exec
	s_mov_b32 s60, 0
	s_mov_b64 s[56:57], -1
	s_waitcnt lgkmcnt(0)
	flat_load_dword v0, v[0:1] glc
	s_waitcnt vmcnt(0) lgkmcnt(0)
	buffer_invl2
	buffer_wbinvl1_vol
	v_cmp_eq_u32_e32 vcc, 0, v0
	s_and_b64 vcc, vcc, exec
	s_or_b64 s[54:55], s[54:55], vcc
.LBB10_767:                             ;   in Loop: Header=BB10_765 Depth=2
	s_andn2_b64 s[52:53], s[52:53], exec
	s_and_b64 s[56:57], s[56:57], exec
	s_mov_b64 vcc, -1
	s_or_b64 s[52:53], s[52:53], s[56:57]
	s_and_saveexec_b64 s[56:57], s[54:55]
	s_cbranch_execz .LBB10_764
; %bb.768:                              ;   in Loop: Header=BB10_765 Depth=2
	s_sleep 1
	s_trap 2
	ds_read_b64 v[0:1], v0
	s_andn2_b64 s[52:53], s[52:53], exec
	s_waitcnt lgkmcnt(0)
	v_cmp_ge_u64_e32 vcc, v[0:1], v[38:39]
	s_orn2_b64 vcc, vcc, exec
	s_branch .LBB10_764
.LBB10_769:                             ;   in Loop: Header=BB10_665 Depth=1
	s_or_b64 exec, exec, s[48:49]
	s_and_saveexec_b64 vcc, s[50:51]
	s_xor_b64 vcc, exec, vcc
	s_cbranch_execz .LBB10_771
; %bb.770:                              ;   in Loop: Header=BB10_665 Depth=1
	ds_write_b32 v0, v18
	s_trap 2
.LBB10_771:                             ;   in Loop: Header=BB10_665 Depth=1
	s_or_b64 exec, exec, s[46:47]
	;;#ASMSTART
	s_wakeup
	;;#ASMEND
.LBB10_772:                             ;   in Loop: Header=BB10_665 Depth=1
	s_or_b64 exec, exec, s[44:45]
.LBB10_773:                             ;   in Loop: Header=BB10_665 Depth=1
	s_andn2_saveexec_b64 vcc, s[42:43]
	s_cbranch_execz .LBB10_775
; %bb.774:                              ;   in Loop: Header=BB10_665 Depth=1
	s_waitcnt vmcnt(0) lgkmcnt(0)
	buffer_wbinvl1_vol
	s_barrier
.LBB10_775:                             ;   in Loop: Header=BB10_665 Depth=1
	s_or_b64 exec, exec, vcc
.LBB10_776:                             ;   in Loop: Header=BB10_665 Depth=1
	s_or_b64 exec, exec, s[40:41]
	v_and_b32_e32 v11, 16, v54
	v_cmp_ne_u32_e32 vcc, 0, v11
	s_and_b64 vcc, vcc, s[20:21]
	s_and_saveexec_b64 s[20:21], vcc
	s_cbranch_execz .LBB10_778
; %bb.777:                              ;   in Loop: Header=BB10_665 Depth=1
	s_waitcnt vmcnt(0) lgkmcnt(0)
	buffer_wbinvl1_vol
.LBB10_778:                             ;   in Loop: Header=BB10_665 Depth=1
	s_or_b64 exec, exec, s[20:21]
	v_cmp_ne_u32_e32 vcc, 0, v11
	s_and_saveexec_b64 s[20:21], vcc
	s_cbranch_execz .LBB10_782
; %bb.779:                              ;   in Loop: Header=BB10_665 Depth=1
	s_and_saveexec_b64 vcc, s[18:19]
	s_cbranch_execz .LBB10_781
; %bb.780:                              ;   in Loop: Header=BB10_665 Depth=1
	v_accvgpr_read_b32 v0, a18
	v_accvgpr_read_b32 v1, a19
	flat_store_dword v[0:1], v18
.LBB10_781:                             ;   in Loop: Header=BB10_665 Depth=1
	s_or_b64 exec, exec, vcc
	v_accvgpr_read_b32 v0, a10
	v_accvgpr_read_b32 v2, a12
	;; [unrolled: 1-line block ×3, first 2 shown]
	v_add_co_u32_e32 v2, vcc, 1, v2
	v_addc_co_u32_e32 v3, vcc, 0, v3, vcc
	v_accvgpr_read_b32 v1, a11
	v_accvgpr_write_b32 a13, v3
	v_accvgpr_write_b32 a12, v2
	v_accvgpr_write_b32 a11, v1
	v_accvgpr_write_b32 a10, v0
	flat_store_dwordx2 v[32:33], v[2:3]
.LBB10_782:                             ;   in Loop: Header=BB10_665 Depth=1
	s_or_b64 exec, exec, s[20:21]
	v_mov_b32_e32 v11, v52
.LBB10_783:                             ;   in Loop: Header=BB10_665 Depth=1
	s_or_b64 exec, exec, s[38:39]
	s_and_saveexec_b64 s[38:39], s[36:37]
	s_cbranch_execz .LBB10_664
; %bb.784:                              ;   in Loop: Header=BB10_665 Depth=1
	v_and_b32_e32 v0, 8, v54
	v_cmp_ne_u32_e32 vcc, 0, v0
	s_mov_b64 s[36:37], -1
	s_and_saveexec_b64 s[20:21], vcc
	s_cbranch_execz .LBB10_796
; %bb.785:                              ;   in Loop: Header=BB10_665 Depth=1
	v_add_co_u32_e32 v0, vcc, 8, v36
	v_accvgpr_read_b32 v2, a10
	v_addc_co_u32_e32 v1, vcc, 0, v37, vcc
	v_accvgpr_read_b32 v4, a12
	v_accvgpr_read_b32 v5, a13
	v_add_co_u32_e32 v22, vcc, 1, v4
	v_addc_co_u32_e32 v23, vcc, 0, v5, vcc
	v_cmp_lt_u64_e32 vcc, v[0:1], v[22:23]
	v_mov_b32_e32 v12, 1
	v_accvgpr_read_b32 v3, a11
	s_and_saveexec_b64 s[36:37], vcc
	s_cbranch_execz .LBB10_795
; %bb.786:                              ;   in Loop: Header=BB10_665 Depth=1
	s_mov_b64 s[40:41], 0
	v_mov_b32_e32 v12, 0
                                        ; implicit-def: $sgpr42_sgpr43
	s_branch .LBB10_790
.LBB10_787:                             ;   in Loop: Header=BB10_790 Depth=2
	s_or_b64 exec, exec, s[50:51]
	v_mov_b32_e32 v21, 0
	s_orn2_b64 s[48:49], s[48:49], exec
.LBB10_788:                             ;   in Loop: Header=BB10_790 Depth=2
	s_or_b64 exec, exec, s[46:47]
	s_andn2_b64 vcc, s[42:43], exec
	s_and_b64 s[42:43], s[48:49], exec
	s_or_b64 s[42:43], vcc, s[42:43]
	v_mov_b32_e32 v12, v21
.LBB10_789:                             ;   in Loop: Header=BB10_790 Depth=2
	s_or_b64 exec, exec, s[44:45]
	s_waitcnt vmcnt(0) lgkmcnt(0)
	v_add_co_u32_e32 v0, vcc, 8, v36
	v_addc_co_u32_e32 v1, vcc, 0, v37, vcc
	v_cmp_ge_u64_e32 vcc, v[0:1], v[22:23]
	s_xor_b64 s[44:45], s[42:43], -1
	s_or_b64 vcc, s[44:45], vcc
	s_and_b64 vcc, exec, vcc
	s_or_b64 s[40:41], vcc, s[40:41]
	s_andn2_b64 exec, exec, s[40:41]
	s_cbranch_execz .LBB10_794
.LBB10_790:                             ;   Parent Loop BB10_665 Depth=1
                                        ; =>  This Inner Loop Header: Depth=2
	s_sleep 1
	flat_load_dwordx2 v[36:37], v[32:33] glc
	v_and_b32_e32 v0, 64, v54
	v_cmp_eq_u32_e32 vcc, 0, v0
	s_andn2_b64 s[42:43], s[42:43], exec
	s_and_saveexec_b64 s[44:45], vcc
	s_cbranch_execz .LBB10_789
; %bb.791:                              ;   in Loop: Header=BB10_790 Depth=2
	v_add_u32_e32 v21, 1, v12
	v_cmp_lt_i32_e32 vcc, s59, v12
	s_mov_b64 s[48:49], -1
	s_and_saveexec_b64 s[46:47], vcc
	s_cbranch_execz .LBB10_788
; %bb.792:                              ;   in Loop: Header=BB10_790 Depth=2
	s_trap 2
	ds_read_b64 v[0:1], v0
	s_waitcnt vmcnt(0) lgkmcnt(0)
	flat_load_dword v12, v[0:1] glc
	s_waitcnt vmcnt(0) lgkmcnt(0)
	buffer_invl2
	buffer_wbinvl1_vol
	v_cmp_ne_u32_e32 vcc, 0, v12
	s_and_saveexec_b64 s[50:51], vcc
	s_cbranch_execz .LBB10_787
; %bb.793:                              ;   in Loop: Header=BB10_790 Depth=2
	v_or_b32_e32 v54, 64, v54
	s_xor_b64 s[48:49], exec, -1
	ds_write_b32 v0, v12
	s_trap 2
	s_branch .LBB10_787
.LBB10_794:                             ;   in Loop: Header=BB10_665 Depth=1
	s_or_b64 exec, exec, s[40:41]
	v_and_b32_e32 v12, 8, v54
.LBB10_795:                             ;   in Loop: Header=BB10_665 Depth=1
	s_or_b64 exec, exec, s[36:37]
	v_cmp_eq_u32_e32 vcc, 0, v12
	s_orn2_b64 s[36:37], vcc, exec
	;;#ASMSTART
	s_wakeup
	;;#ASMEND
.LBB10_796:                             ;   in Loop: Header=BB10_665 Depth=1
	s_or_b64 exec, exec, s[20:21]
	v_sub_u32_e32 v0, v20, v11
	s_xor_b64 s[20:21], s[36:37], -1
	v_min_i32_e32 v20, v52, v0
	s_and_saveexec_b64 s[36:37], s[20:21]
	s_cbranch_execz .LBB10_806
; %bb.797:                              ;   in Loop: Header=BB10_665 Depth=1
	v_and_b32_e32 v0, 0x100, v54
	v_cmp_ne_u32_e32 vcc, 0, v0
	v_accvgpr_read_b32 v0, a10
	v_accvgpr_read_b32 v2, a12
	v_and_b32_e32 v11, 7, v2
	s_mov_b64 s[20:21], -1
	v_accvgpr_read_b32 v1, a11
	v_accvgpr_read_b32 v3, a13
                                        ; implicit-def: $vgpr22_vgpr23
	s_and_saveexec_b64 s[40:41], vcc
	s_cbranch_execz .LBB10_801
; %bb.798:                              ;   in Loop: Header=BB10_665 Depth=1
	v_accvgpr_read_b32 v0, a10
	v_accvgpr_read_b32 v1, a11
	v_accvgpr_read_b32 v2, a12
	v_mad_u64_u32 v[24:25], s[20:21], v11, 24, v[0:1]
	flat_load_dword v2, v[24:25]
	v_ashrrev_i32_e32 v21, 31, v20
	v_lshlrev_b64 v[0:1], 1, v[20:21]
	v_accvgpr_read_b32 v3, a13
	flat_store_dwordx2 v[24:25], v[0:1] offset:8
                                        ; implicit-def: $vgpr22_vgpr23
	s_waitcnt vmcnt(0) lgkmcnt(0)
	v_cmp_ne_u32_e32 vcc, 1, v2
	v_cmp_eq_u32_e64 s[20:21], 1, v2
	s_and_saveexec_b64 s[42:43], s[20:21]
	s_cbranch_execz .LBB10_800
; %bb.799:                              ;   in Loop: Header=BB10_665 Depth=1
	flat_load_dword v0, v[24:25] offset:4 glc
	s_waitcnt vmcnt(0) lgkmcnt(0)
	v_ashrrev_i32_e32 v1, 31, v0
	v_lshrrev_b64 v[22:23], 1, v[0:1]
.LBB10_800:                             ;   in Loop: Header=BB10_665 Depth=1
	s_or_b64 exec, exec, s[42:43]
	s_orn2_b64 s[20:21], vcc, exec
.LBB10_801:                             ;   in Loop: Header=BB10_665 Depth=1
	s_or_b64 exec, exec, s[40:41]
	s_and_saveexec_b64 vcc, s[20:21]
; %bb.802:                              ;   in Loop: Header=BB10_665 Depth=1
	v_accvgpr_read_b32 v0, a14
	v_mad_i64_i32 v[22:23], s[20:21], v11, v0, 0
; %bb.803:                              ;   in Loop: Header=BB10_665 Depth=1
	s_or_b64 exec, exec, vcc
	v_lshlrev_b64 v[0:1], 1, v[22:23]
	v_accvgpr_read_b32 v2, a16
	v_accvgpr_read_b32 v3, a17
	v_add_co_u32_e32 v0, vcc, v2, v0
	v_addc_co_u32_e32 v1, vcc, v3, v1, vcc
	ds_write_b64 v0, v[0:1] offset:784
	v_and_b32_e32 v0, 0x2000, v54
	v_cmp_ne_u32_e32 vcc, 0, v0
	s_and_saveexec_b64 s[20:21], vcc
	s_cbranch_execz .LBB10_805
; %bb.804:                              ;   in Loop: Header=BB10_665 Depth=1
	ds_read_b64 v[0:1], v0 offset:584
	s_waitcnt lgkmcnt(0)
	v_add_co_u32_e32 v0, vcc, 1, v0
	v_addc_co_u32_e32 v1, vcc, 0, v1, vcc
	ds_write_b64 v0, v[0:1] offset:584
.LBB10_805:                             ;   in Loop: Header=BB10_665 Depth=1
	s_or_b64 exec, exec, s[20:21]
	v_accvgpr_read_b32 v0, a10
	v_accvgpr_read_b32 v2, a12
	;; [unrolled: 1-line block ×3, first 2 shown]
	v_add_co_u32_e32 v2, vcc, 1, v2
	v_addc_co_u32_e32 v3, vcc, 0, v3, vcc
	v_accvgpr_read_b32 v1, a11
	v_accvgpr_write_b32 a13, v3
	v_accvgpr_write_b32 a12, v2
	;; [unrolled: 1-line block ×4, first 2 shown]
.LBB10_806:                             ;   in Loop: Header=BB10_665 Depth=1
	s_or_b64 exec, exec, s[36:37]
	s_and_saveexec_b64 s[20:21], s[10:11]
	s_cbranch_execz .LBB10_825
; %bb.807:                              ;   in Loop: Header=BB10_665 Depth=1
	s_and_saveexec_b64 vcc, s[30:31]
	s_xor_b64 s[36:37], exec, vcc
	s_cbranch_execz .LBB10_822
; %bb.808:                              ;   in Loop: Header=BB10_665 Depth=1
	s_and_saveexec_b64 s[40:41], s[12:13]
	s_cbranch_execz .LBB10_821
; %bb.809:                              ;   in Loop: Header=BB10_665 Depth=1
	s_mov_b64 s[44:45], exec
	v_mbcnt_lo_u32_b32 v0, s44, 0
	v_mbcnt_hi_u32_b32 v0, s45, v0
	v_cmp_eq_u32_e32 vcc, 0, v0
	s_waitcnt vmcnt(0) lgkmcnt(0)
	buffer_wbinvl1_vol
	s_and_saveexec_b64 s[42:43], vcc
	s_cbranch_execz .LBB10_811
; %bb.810:                              ;   in Loop: Header=BB10_665 Depth=1
	s_bcnt1_i32_b64 vcc_lo, s[44:45]
	v_mov_b32_e32 v12, vcc_lo
	ds_add_u64 v0, v[12:13]
	s_trap 2
.LBB10_811:                             ;   in Loop: Header=BB10_665 Depth=1
	s_or_b64 exec, exec, s[42:43]
	s_trap 2
	ds_read_b64 v[0:1], v0
	v_add_co_u32_e32 v38, vcc, v38, v10
	v_addc_co_u32_e32 v39, vcc, 0, v39, vcc
	s_waitcnt lgkmcnt(0)
	v_cmp_lt_u64_e32 vcc, v[0:1], v[38:39]
	s_and_saveexec_b64 s[42:43], vcc
	s_cbranch_execz .LBB10_820
; %bb.812:                              ;   in Loop: Header=BB10_665 Depth=1
	s_mov_b32 s54, 0
	s_mov_b64 s[44:45], 0
                                        ; implicit-def: $sgpr46_sgpr47
                                        ; implicit-def: $sgpr48_sgpr49
	s_branch .LBB10_814
.LBB10_813:                             ;   in Loop: Header=BB10_814 Depth=2
	s_or_b64 exec, exec, s[52:53]
	s_and_b64 vcc, exec, vcc
	s_or_b64 s[44:45], vcc, s[44:45]
	s_andn2_b64 vcc, s[46:47], exec
	s_and_b64 s[46:47], s[48:49], exec
	s_or_b64 s[46:47], vcc, s[46:47]
	s_andn2_b64 exec, exec, s[44:45]
	s_cbranch_execz .LBB10_818
.LBB10_814:                             ;   Parent Loop BB10_665 Depth=1
                                        ; =>  This Inner Loop Header: Depth=2
	s_add_i32 s54, s54, 1
	s_cmpk_lg_i32 s54, 0x2710
	s_cselect_b64 s[50:51], -1, 0
	s_and_b64 vcc, exec, s[50:51]
                                        ; implicit-def: $sgpr52_sgpr53
	s_cbranch_vccnz .LBB10_816
; %bb.815:                              ;   in Loop: Header=BB10_814 Depth=2
	s_trap 2
	ds_read_b64 v[0:1], v0
	s_andn2_b64 s[50:51], s[50:51], exec
	s_mov_b32 s54, 0
	s_mov_b64 s[52:53], -1
	s_waitcnt lgkmcnt(0)
	flat_load_dword v0, v[0:1] glc
	s_waitcnt vmcnt(0) lgkmcnt(0)
	buffer_invl2
	buffer_wbinvl1_vol
	v_cmp_eq_u32_e32 vcc, 0, v0
	s_and_b64 vcc, vcc, exec
	s_or_b64 s[50:51], s[50:51], vcc
.LBB10_816:                             ;   in Loop: Header=BB10_814 Depth=2
	s_andn2_b64 s[48:49], s[48:49], exec
	s_and_b64 s[52:53], s[52:53], exec
	s_mov_b64 vcc, -1
	s_or_b64 s[48:49], s[48:49], s[52:53]
	s_and_saveexec_b64 s[52:53], s[50:51]
	s_cbranch_execz .LBB10_813
; %bb.817:                              ;   in Loop: Header=BB10_814 Depth=2
	s_sleep 1
	s_trap 2
	ds_read_b64 v[0:1], v0
	s_andn2_b64 s[48:49], s[48:49], exec
	s_waitcnt lgkmcnt(0)
	v_cmp_ge_u64_e32 vcc, v[0:1], v[38:39]
	s_orn2_b64 vcc, vcc, exec
	s_branch .LBB10_813
.LBB10_818:                             ;   in Loop: Header=BB10_665 Depth=1
	s_or_b64 exec, exec, s[44:45]
	s_and_saveexec_b64 vcc, s[46:47]
	s_xor_b64 vcc, exec, vcc
	s_cbranch_execz .LBB10_820
; %bb.819:                              ;   in Loop: Header=BB10_665 Depth=1
	ds_write_b32 v0, v18
	s_trap 2
.LBB10_820:                             ;   in Loop: Header=BB10_665 Depth=1
	s_or_b64 exec, exec, s[42:43]
	;;#ASMSTART
	s_wakeup
	;;#ASMEND
.LBB10_821:                             ;   in Loop: Header=BB10_665 Depth=1
	s_or_b64 exec, exec, s[40:41]
.LBB10_822:                             ;   in Loop: Header=BB10_665 Depth=1
	s_andn2_saveexec_b64 vcc, s[36:37]
	s_cbranch_execz .LBB10_824
; %bb.823:                              ;   in Loop: Header=BB10_665 Depth=1
	s_waitcnt vmcnt(0) lgkmcnt(0)
	buffer_wbinvl1_vol
	s_barrier
.LBB10_824:                             ;   in Loop: Header=BB10_665 Depth=1
	s_or_b64 exec, exec, vcc
.LBB10_825:                             ;   in Loop: Header=BB10_665 Depth=1
	s_or_b64 exec, exec, s[20:21]
	s_trap 2
	ds_read_b32 v0, v0
	v_cmp_lt_i32_e32 vcc, 0, v20
	v_and_b32_e32 v11, 16, v54
	s_waitcnt lgkmcnt(0)
	v_readfirstlane_b32 s20, v0
	s_cmp_eq_u32 s20, 0
	s_cselect_b64 s[20:21], -1, 0
	s_and_b64 s[20:21], vcc, s[20:21]
	v_cmp_ne_u32_e32 vcc, 0, v11
	s_and_b64 vcc, vcc, s[20:21]
	s_and_saveexec_b64 s[20:21], vcc
	s_cbranch_execz .LBB10_827
; %bb.826:                              ;   in Loop: Header=BB10_665 Depth=1
	s_waitcnt vmcnt(0)
	buffer_wbinvl1_vol
.LBB10_827:                             ;   in Loop: Header=BB10_665 Depth=1
	s_or_b64 exec, exec, s[20:21]
	v_cmp_ne_u32_e32 vcc, 0, v11
	s_and_saveexec_b64 s[20:21], vcc
	s_cbranch_execz .LBB10_663
; %bb.828:                              ;   in Loop: Header=BB10_665 Depth=1
	s_and_saveexec_b64 vcc, s[18:19]
	s_cbranch_execz .LBB10_662
; %bb.829:                              ;   in Loop: Header=BB10_665 Depth=1
	v_accvgpr_read_b32 v0, a18
	v_accvgpr_read_b32 v1, a19
	flat_store_dword v[0:1], v18
	s_branch .LBB10_662
.LBB10_830:
	s_or_b64 exec, exec, s[28:29]
	v_accvgpr_read_b32 v27, a9
	v_accvgpr_read_b32 v7, a0
	;; [unrolled: 1-line block ×5, first 2 shown]
.LBB10_831:
	s_or_b64 exec, exec, s[26:27]
.LBB10_832:
	s_or_b64 exec, exec, s[22:23]
	v_and_b32_e32 v0, 0x800, v54
	v_cmp_eq_u32_e32 vcc, 0, v0
	s_and_saveexec_b64 s[4:5], vcc
	s_cbranch_execz .LBB10_867
; %bb.833:
	v_and_b32_e32 v0, 48, v54
	v_cmp_ne_u32_e32 vcc, 0, v0
	s_and_saveexec_b64 s[6:7], vcc
	s_cbranch_execz .LBB10_835
; %bb.834:
	v_accvgpr_read_b32 v0, a10
	v_accvgpr_read_b32 v2, a12
	;; [unrolled: 1-line block ×4, first 2 shown]
	flat_store_dwordx2 v[26:27], v[2:3] offset:104
.LBB10_835:
	s_or_b64 exec, exec, s[6:7]
	s_movk_i32 s6, 0x88
	v_and_b32_e32 v0, 0x88, v54
	v_cmp_eq_u32_e32 vcc, s6, v0
	s_and_saveexec_b64 s[6:7], vcc
	s_cbranch_execz .LBB10_847
; %bb.836:
	v_accvgpr_read_b32 v2, a10
	v_accvgpr_read_b32 v4, a12
	v_add_u32_e32 v0, -1, v4
	v_accvgpr_read_b32 v3, a11
	v_and_b32_e32 v0, 7, v0
	v_mad_u64_u32 v[0:1], s[10:11], v0, 24, v[2:3]
	v_add_co_u32_e32 v2, vcc, 8, v0
	v_addc_co_u32_e32 v3, vcc, 0, v1, vcc
	s_mov_b64 s[10:11], 0
	v_mov_b32_e32 v0, 0
	s_movk_i32 s26, 0x270e
                                        ; implicit-def: $sgpr12_sgpr13
	s_branch .LBB10_841
.LBB10_837:                             ;   in Loop: Header=BB10_841 Depth=1
	s_or_b64 exec, exec, s[22:23]
	v_mov_b32_e32 v4, 0
	s_orn2_b64 s[20:21], s[20:21], exec
.LBB10_838:                             ;   in Loop: Header=BB10_841 Depth=1
	s_or_b64 exec, exec, s[18:19]
	s_and_b64 s[18:19], s[20:21], exec
	v_mov_b32_e32 v0, v4
.LBB10_839:                             ;   in Loop: Header=BB10_841 Depth=1
	s_or_b64 exec, exec, s[16:17]
	s_xor_b64 s[16:17], s[18:19], -1
	s_andn2_b64 s[12:13], s[12:13], exec
	s_and_b64 s[16:17], s[16:17], exec
	s_or_b64 s[12:13], s[12:13], s[16:17]
.LBB10_840:                             ;   in Loop: Header=BB10_841 Depth=1
	s_or_b64 exec, exec, s[14:15]
	s_and_b64 s[14:15], exec, s[12:13]
	s_or_b64 s[10:11], s[14:15], s[10:11]
	s_andn2_b64 exec, exec, s[10:11]
	s_cbranch_execz .LBB10_846
.LBB10_841:                             ; =>This Inner Loop Header: Depth=1
	flat_load_dwordx2 v[4:5], v[2:3] glc
	s_waitcnt vmcnt(0)
	s_or_b64 s[12:13], s[12:13], exec
	s_waitcnt lgkmcnt(0)
	v_cmp_ne_u64_e32 vcc, -1, v[4:5]
	s_and_saveexec_b64 s[14:15], vcc
	s_cbranch_execz .LBB10_840
; %bb.842:                              ;   in Loop: Header=BB10_841 Depth=1
	v_and_b32_e32 v1, 64, v54
	v_cmp_eq_u32_e32 vcc, 0, v1
	s_mov_b64 s[18:19], 0
	s_and_saveexec_b64 s[16:17], vcc
	s_cbranch_execz .LBB10_839
; %bb.843:                              ;   in Loop: Header=BB10_841 Depth=1
	v_add_u32_e32 v4, 1, v0
	v_cmp_lt_i32_e32 vcc, s26, v0
	s_mov_b64 s[20:21], -1
	s_and_saveexec_b64 s[18:19], vcc
	s_cbranch_execz .LBB10_838
; %bb.844:                              ;   in Loop: Header=BB10_841 Depth=1
	s_trap 2
	ds_read_b64 v[0:1], v0
	s_waitcnt lgkmcnt(0)
	flat_load_dword v0, v[0:1] glc
	s_waitcnt vmcnt(0) lgkmcnt(0)
	buffer_invl2
	buffer_wbinvl1_vol
	v_cmp_ne_u32_e32 vcc, 0, v0
	s_and_saveexec_b64 s[22:23], vcc
	s_cbranch_execz .LBB10_837
; %bb.845:                              ;   in Loop: Header=BB10_841 Depth=1
	v_or_b32_e32 v54, 64, v54
	s_xor_b64 s[20:21], exec, -1
	ds_write_b32 v0, v0
	s_trap 2
	s_branch .LBB10_837
.LBB10_846:
	s_or_b64 exec, exec, s[10:11]
.LBB10_847:
	s_or_b64 exec, exec, s[6:7]
	v_and_b32_e32 v0, 0x2000, v54
	v_cmp_ne_u32_e32 vcc, 0, v0
	s_and_saveexec_b64 s[6:7], vcc
	s_cbranch_execz .LBB10_849
; %bb.848:
	s_trap 2
	ds_read_b64 v[0:1], v0
	v_accvgpr_read_b32 v2, a6
	v_accvgpr_read_b32 v3, a7
	s_waitcnt lgkmcnt(0)
	flat_store_dwordx2 v[2:3], v[0:1] offset:16
.LBB10_849:
	s_or_b64 exec, exec, s[6:7]
	v_cmp_ne_u32_e32 vcc, 64, v7
	s_and_b64 exec, exec, vcc
	s_cbranch_execz .LBB10_867
; %bb.850:
	s_waitcnt vmcnt(0)
	v_cmp_ne_u32_sdwa s[6:7], v8, v7 src0_sel:WORD_0 src1_sel:DWORD
	s_and_saveexec_b64 s[10:11], s[6:7]
	s_xor_b64 s[6:7], exec, s[10:11]
	s_cbranch_execz .LBB10_865
; %bb.851:
	v_and_b32_e32 v0, 63, v31
	v_cmp_eq_u32_e32 vcc, 0, v0
	s_and_saveexec_b64 s[10:11], vcc
	s_cbranch_execz .LBB10_864
; %bb.852:
	s_mov_b64 s[14:15], exec
	v_mbcnt_lo_u32_b32 v0, s14, 0
	v_mbcnt_hi_u32_b32 v0, s15, v0
	v_cmp_eq_u32_e32 vcc, 0, v0
	s_waitcnt lgkmcnt(0)
	buffer_wbinvl1_vol
	s_and_saveexec_b64 s[12:13], vcc
	s_cbranch_execz .LBB10_854
; %bb.853:
	s_bcnt1_i32_b64 s14, s[14:15]
	v_mov_b32_e32 v0, s14
	v_mov_b32_e32 v1, 0
	ds_add_u64 v0, v[0:1]
	s_trap 2
.LBB10_854:
	s_or_b64 exec, exec, s[12:13]
	v_ashrrev_i32_e32 v0, 31, v7
	v_lshrrev_b32_e32 v0, 26, v0
	v_add_u32_e32 v0, v7, v0
	v_ashrrev_i32_e32 v0, 6, v0
	s_trap 2
	ds_read_b64 v[2:3], v0
	v_ashrrev_i32_e32 v1, 31, v0
	v_add_co_u32_e32 v0, vcc, v38, v0
	v_addc_co_u32_e32 v1, vcc, v39, v1, vcc
	s_waitcnt lgkmcnt(0)
	v_cmp_lt_u64_e32 vcc, v[2:3], v[0:1]
	s_and_saveexec_b64 s[12:13], vcc
	s_cbranch_execz .LBB10_863
; %bb.855:
	s_mov_b32 s28, 0
	s_mov_b64 s[14:15], 0
                                        ; implicit-def: $sgpr16_sgpr17
                                        ; implicit-def: $sgpr18_sgpr19
	s_branch .LBB10_857
.LBB10_856:                             ;   in Loop: Header=BB10_857 Depth=1
	s_or_b64 exec, exec, s[26:27]
	s_and_b64 s[20:21], exec, s[22:23]
	s_or_b64 s[14:15], s[20:21], s[14:15]
	s_andn2_b64 s[16:17], s[16:17], exec
	s_and_b64 s[20:21], s[18:19], exec
	s_or_b64 s[16:17], s[16:17], s[20:21]
	s_andn2_b64 exec, exec, s[14:15]
	s_cbranch_execz .LBB10_861
.LBB10_857:                             ; =>This Inner Loop Header: Depth=1
	s_add_i32 s28, s28, 1
	s_cmpk_lg_i32 s28, 0x2710
	s_cselect_b64 s[20:21], -1, 0
	s_and_b64 vcc, exec, s[20:21]
                                        ; implicit-def: $sgpr26_sgpr27
	s_cbranch_vccnz .LBB10_859
; %bb.858:                              ;   in Loop: Header=BB10_857 Depth=1
	s_trap 2
	ds_read_b64 v[2:3], v0
	s_andn2_b64 s[20:21], s[20:21], exec
	s_mov_b32 s28, 0
	s_mov_b64 s[26:27], -1
	s_waitcnt lgkmcnt(0)
	flat_load_dword v2, v[2:3] glc
	s_waitcnt vmcnt(0) lgkmcnt(0)
	buffer_invl2
	buffer_wbinvl1_vol
	v_cmp_eq_u32_e32 vcc, 0, v2
	s_and_b64 s[22:23], vcc, exec
	s_or_b64 s[20:21], s[20:21], s[22:23]
.LBB10_859:                             ;   in Loop: Header=BB10_857 Depth=1
	s_andn2_b64 s[18:19], s[18:19], exec
	s_and_b64 s[26:27], s[26:27], exec
	s_mov_b64 s[22:23], -1
	s_or_b64 s[18:19], s[18:19], s[26:27]
	s_and_saveexec_b64 s[26:27], s[20:21]
	s_cbranch_execz .LBB10_856
; %bb.860:                              ;   in Loop: Header=BB10_857 Depth=1
	s_sleep 1
	s_trap 2
	ds_read_b64 v[2:3], v0
	s_andn2_b64 s[18:19], s[18:19], exec
	s_waitcnt lgkmcnt(0)
	v_cmp_ge_u64_e32 vcc, v[2:3], v[0:1]
	s_orn2_b64 s[22:23], vcc, exec
	s_branch .LBB10_856
.LBB10_861:
	s_or_b64 exec, exec, s[14:15]
	s_and_saveexec_b64 s[14:15], s[16:17]
	s_xor_b64 s[14:15], exec, s[14:15]
	s_cbranch_execz .LBB10_863
; %bb.862:
	v_mov_b32_e32 v0, 1
	ds_write_b32 v0, v0
	s_trap 2
.LBB10_863:
	s_or_b64 exec, exec, s[12:13]
	;;#ASMSTART
	s_wakeup
	;;#ASMEND
.LBB10_864:
	s_or_b64 exec, exec, s[10:11]
.LBB10_865:
	s_andn2_saveexec_b64 s[6:7], s[6:7]
	s_cbranch_execz .LBB10_867
; %bb.866:
	s_waitcnt lgkmcnt(0)
	buffer_wbinvl1_vol
	s_barrier
.LBB10_867:
	s_or_b64 exec, exec, s[4:5]
.LBB10_868:
	s_andn2_saveexec_b64 s[26:27], s[24:25]
	s_cbranch_execz .LBB10_870
; %bb.869:
	s_getpc_b64 s[4:5]
	s_add_u32 s4, s4, __PRETTY_FUNCTION__._ZN10PrimitivesI12hip_bfloat167FuncSumIS0_E12FanSymmetricILi1EELi0E11ProtoSimpleILi1ELi1ELi0ELi4ELi0ELi0EELi0ELb0ELi0ELi0ELi0EEC2EiiPKiS9_PKvPvmhhhP15ncclDevWorkCollP14ncclDevWorkP2pii@rel32@lo+4
	s_addc_u32 s5, s5, __PRETTY_FUNCTION__._ZN10PrimitivesI12hip_bfloat167FuncSumIS0_E12FanSymmetricILi1EELi0E11ProtoSimpleILi1ELi1ELi0ELi4ELi0ELi0EELi0ELb0ELi0ELi0ELi0EEC2EiiPKiS9_PKvPvmhhhP15ncclDevWorkCollP14ncclDevWorkP2pii@rel32@hi+12
	v_mov_b32_e32 v0, s4
	v_mov_b32_e32 v1, s5
	s_getpc_b64 s[6:7]
	s_add_u32 s6, s6, __assert_fail@rel32@lo+4
	s_addc_u32 s7, s7, __assert_fail@rel32@hi+12
	s_swappc_b64 s[30:31], s[6:7]
	; divergent unreachable
.LBB10_870:
	s_or_b64 exec, exec, s[26:27]
	buffer_load_dword v62, off, s[0:3], s33 ; 4-byte Folded Reload
	buffer_load_dword v61, off, s[0:3], s33 offset:4 ; 4-byte Folded Reload
	buffer_load_dword v60, off, s[0:3], s33 offset:8 ; 4-byte Folded Reload
	;; [unrolled: 1-line block ×7, first 2 shown]
	v_readlane_b32 s30, v63, 37
	v_readlane_b32 s31, v63, 38
	;; [unrolled: 1-line block ×39, first 2 shown]
	v_accvgpr_read_b32 v46, a31             ;  Reload Reuse
	v_accvgpr_read_b32 v45, a30             ;  Reload Reuse
	v_accvgpr_read_b32 v44, a29             ;  Reload Reuse
	v_accvgpr_read_b32 v43, a28             ;  Reload Reuse
	v_accvgpr_read_b32 v42, a27             ;  Reload Reuse
	v_accvgpr_read_b32 v41, a26             ;  Reload Reuse
	v_accvgpr_read_b32 v40, a25             ;  Reload Reuse
	v_readlane_b32 s4, v63, 39
	s_or_saveexec_b64 s[6:7], -1
	buffer_load_dword v63, off, s[0:3], s33 offset:32 ; 4-byte Folded Reload
	s_mov_b64 exec, s[6:7]
	s_addk_i32 s32, 0xf400
	s_mov_b32 s33, s4
	s_waitcnt vmcnt(0) lgkmcnt(0)
	s_setpc_b64 s[30:31]
.Lfunc_end10:
	.size	_ZN12_GLOBAL__N_17runRingI12hip_bfloat167FuncSumIS1_E11ProtoSimpleILi1ELi1ELi0ELi4ELi0ELi0EELi0ELi4ELi0EEEviiP15ncclDevWorkColl, .Lfunc_end10-_ZN12_GLOBAL__N_17runRingI12hip_bfloat167FuncSumIS1_E11ProtoSimpleILi1ELi1ELi0ELi4ELi0ELi0EELi0ELi4ELi0EEEviiP15ncclDevWorkColl
                                        ; -- End function
	.section	.AMDGPU.csdata,"",@progbits
; Function info:
; codeLenInByte = 27144
; NumSgprs: 75
; NumVgprs: 64
; NumAgprs: 32
; TotalNumVgprs: 96
; ScratchSize: 112
; MemoryBound: 1
	.text
	.p2align	2                               ; -- Begin function _Z45ncclDevFunc_Reduce_RING_SIMPLE_Sum_bf16_0_0_4v
	.type	_Z45ncclDevFunc_Reduce_RING_SIMPLE_Sum_bf16_0_0_4v,@function
_Z45ncclDevFunc_Reduce_RING_SIMPLE_Sum_bf16_0_0_4v: ; @_Z45ncclDevFunc_Reduce_RING_SIMPLE_Sum_bf16_0_0_4v
; %bb.0:
	s_waitcnt vmcnt(0) expcnt(0) lgkmcnt(0)
	s_mov_b32 s4, s33
	s_mov_b32 s33, s32
	s_or_saveexec_b64 s[6:7], -1
	buffer_store_dword v43, off, s[0:3], s33 offset:16 ; 4-byte Folded Spill
	s_mov_b64 exec, s[6:7]
	v_writelane_b32 v43, s4, 47
	s_addk_i32 s32, 0x800
	buffer_store_dword v40, off, s[0:3], s33 offset:12 ; 4-byte Folded Spill
	buffer_store_dword v41, off, s[0:3], s33 offset:8 ; 4-byte Folded Spill
	;; [unrolled: 1-line block ×3, first 2 shown]
	buffer_store_dword v63, off, s[0:3], s33 ; 4-byte Folded Spill
	v_writelane_b32 v43, s34, 0
	v_writelane_b32 v43, s35, 1
	;; [unrolled: 1-line block ×47, first 2 shown]
	s_trap 2
	ds_read_b32 v0, v0
	v_mov_b32_e32 v40, v31
	s_mov_b32 s71, s12
	s_mov_b64 s[72:73], s[8:9]
	s_waitcnt lgkmcnt(0)
	v_cmp_gt_i32_e32 vcc, 1, v0
	s_cbranch_vccnz .LBB11_8
; %bb.1:
	s_mov_b32 s78, 0
	v_and_b32_e32 v41, 0x3ff, v40
	s_mov_b64 s[74:75], src_shared_base
	v_mov_b32_e32 v42, 6
	s_branch .LBB11_3
.LBB11_2:                               ;   in Loop: Header=BB11_3 Depth=1
	s_or_b64 exec, exec, s[76:77]
	s_trap 2
	ds_read_b32 v0, v0
	s_add_i32 s78, s78, 1
	s_waitcnt lgkmcnt(0)
	v_cmp_lt_i32_e32 vcc, s78, v0
	s_cbranch_vccz .LBB11_8
.LBB11_3:                               ; =>This Inner Loop Header: Depth=1
	s_trap 2
	ds_read_b32 v0, v0
	s_cmp_eq_u32 s78, 0
	s_cbranch_scc1 .LBB11_6
; %bb.4:                                ;   in Loop: Header=BB11_3 Depth=1
	s_trap 2
	s_waitcnt lgkmcnt(0)
	ds_read_b32 v1, v0
	s_waitcnt lgkmcnt(0)
	v_xor_b32_e32 v1, v1, v0
	v_and_b32_e32 v1, 0xff0000, v1
	v_cmp_eq_u32_e32 vcc, 0, v1
	s_cbranch_vccnz .LBB11_6
; %bb.5:                                ;   in Loop: Header=BB11_3 Depth=1
	s_barrier
	ds_read_b32 v0, v0
.LBB11_6:                               ;   in Loop: Header=BB11_3 Depth=1
	s_waitcnt lgkmcnt(0)
	v_lshlrev_b32_sdwa v1, v42, v0 dst_sel:DWORD dst_unused:UNUSED_PAD src0_sel:DWORD src1_sel:BYTE_2
	v_cmp_lt_u32_e32 vcc, v41, v1
	s_and_saveexec_b64 s[76:77], vcc
	s_cbranch_execz .LBB11_2
; %bb.7:                                ;   in Loop: Header=BB11_3 Depth=1
	s_mov_b64 s[8:9], s[72:73]
	s_mov_b32 s12, s71
	v_mov_b32_e32 v31, v40
	v_mov_b32_e32 v0, v41
	;; [unrolled: 1-line block ×3, first 2 shown]
	s_getpc_b64 s[4:5]
	s_add_u32 s4, s4, _ZN12_GLOBAL__N_17runRingI12hip_bfloat167FuncSumIS1_E11ProtoSimpleILi1ELi1ELi0ELi4ELi0ELi0EELi0ELi4ELi0EEEviiP15ncclDevWorkColl@rel32@lo+4
	s_addc_u32 s5, s5, _ZN12_GLOBAL__N_17runRingI12hip_bfloat167FuncSumIS1_E11ProtoSimpleILi1ELi1ELi0ELi4ELi0ELi0EELi0ELi4ELi0EEEviiP15ncclDevWorkColl@rel32@hi+12
	s_swappc_b64 s[30:31], s[4:5]
	s_branch .LBB11_2
.LBB11_8:
	buffer_load_dword v63, off, s[0:3], s33 ; 4-byte Folded Reload
	buffer_load_dword v42, off, s[0:3], s33 offset:4 ; 4-byte Folded Reload
	buffer_load_dword v41, off, s[0:3], s33 offset:8 ; 4-byte Folded Reload
	;; [unrolled: 1-line block ×3, first 2 shown]
	v_readlane_b32 s30, v43, 45
	v_readlane_b32 s31, v43, 46
	;; [unrolled: 1-line block ×48, first 2 shown]
	s_or_saveexec_b64 s[6:7], -1
	buffer_load_dword v43, off, s[0:3], s33 offset:16 ; 4-byte Folded Reload
	s_mov_b64 exec, s[6:7]
	s_addk_i32 s32, 0xf800
	s_mov_b32 s33, s4
	s_waitcnt vmcnt(0)
	s_setpc_b64 s[30:31]
.Lfunc_end11:
	.size	_Z45ncclDevFunc_Reduce_RING_SIMPLE_Sum_bf16_0_0_4v, .Lfunc_end11-_Z45ncclDevFunc_Reduce_RING_SIMPLE_Sum_bf16_0_0_4v
                                        ; -- End function
	.section	.AMDGPU.csdata,"",@progbits
; Function info:
; codeLenInByte = 1132
; NumSgprs: 83
; NumVgprs: 64
; NumAgprs: 32
; TotalNumVgprs: 96
; ScratchSize: 144
; MemoryBound: 0
	.text
	.p2align	2                               ; -- Begin function _ZN12_GLOBAL__N_17runRingI12hip_bfloat167FuncSumIS1_E11ProtoSimpleILi1ELi1ELi0ELi4ELi0ELi0EELi0ELi4ELi1EEEviiP15ncclDevWorkColl
	.type	_ZN12_GLOBAL__N_17runRingI12hip_bfloat167FuncSumIS1_E11ProtoSimpleILi1ELi1ELi0ELi4ELi0ELi0EELi0ELi4ELi1EEEviiP15ncclDevWorkColl,@function
_ZN12_GLOBAL__N_17runRingI12hip_bfloat167FuncSumIS1_E11ProtoSimpleILi1ELi1ELi0ELi4ELi0ELi0EELi0ELi4ELi1EEEviiP15ncclDevWorkColl: ; @_ZN12_GLOBAL__N_17runRingI12hip_bfloat167FuncSumIS1_E11ProtoSimpleILi1ELi1ELi0ELi4ELi0ELi0EELi0ELi4ELi1EEEviiP15ncclDevWorkColl
; %bb.0:
	s_waitcnt vmcnt(0) expcnt(0) lgkmcnt(0)
	s_mov_b32 s4, s33
	s_mov_b32 s33, s32
	s_or_saveexec_b64 s[6:7], -1
	buffer_store_dword v63, off, s[0:3], s33 offset:208 ; 4-byte Folded Spill
	s_mov_b64 exec, s[6:7]
	v_writelane_b32 v63, s4, 41
	s_addk_i32 s32, 0x3800
	buffer_store_dword v40, off, s[0:3], s33 offset:136 ; 4-byte Folded Spill
	buffer_store_dword v41, off, s[0:3], s33 offset:132 ; 4-byte Folded Spill
	;; [unrolled: 1-line block ×34, first 2 shown]
	buffer_store_dword a51, off, s[0:3], s33 ; 4-byte Folded Spill
	v_writelane_b32 v63, s34, 0
	v_writelane_b32 v63, s35, 1
	;; [unrolled: 1-line block ×41, first 2 shown]
	s_trap 2
	ds_read_b64 v[14:15], v0
	ds_read_b32 v5, v0
	v_mov_b32_e32 v29, v1
	flat_load_ushort v17, v[2:3] offset:8
	flat_load_dwordx2 v[8:9], v[2:3]
                                        ; implicit-def: $vgpr18_vgpr19
                                        ; implicit-def: $vgpr24_vgpr25
                                        ; implicit-def: $agpr6_agpr7
	s_waitcnt lgkmcnt(0)
	v_ashrrev_i32_e32 v7, 31, v15
	v_mov_b32_e32 v6, v15
	v_lshlrev_b64 v[6:7], 2, v[6:7]
	v_add_co_u32_e32 v1, vcc, v14, v6
	v_addc_co_u32_e32 v4, vcc, v15, v7, vcc
	v_add_co_u32_e32 v6, vcc, -4, v1
	v_addc_co_u32_e32 v7, vcc, -1, v4, vcc
	flat_load_dword v4, v[6:7]
	s_waitcnt vmcnt(0)
	v_mov_b32_e32 v16, v9
	v_cmp_ne_u32_sdwa s[4:5], v8, v5 src0_sel:BYTE_0 src1_sel:DWORD
	s_and_saveexec_b64 s[6:7], s[4:5]
	s_xor_b64 s[4:5], exec, s[6:7]
	s_cbranch_execz .LBB12_6
; %bb.1:
	v_not_b32_sdwa v1, v8 dst_sel:DWORD dst_unused:UNUSED_PAD src0_sel:BYTE_0
	v_cmp_ne_u32_sdwa s[6:7], v8, v5 src0_sel:BYTE_1 src1_sel:DWORD
                                        ; implicit-def: $vgpr18_vgpr19
                                        ; implicit-def: $vgpr24_vgpr25
                                        ; implicit-def: $agpr6_agpr7
	s_and_saveexec_b64 s[10:11], s[6:7]
	s_xor_b64 s[6:7], exec, s[10:11]
	s_cbranch_execz .LBB12_3
; %bb.2:
	flat_load_dwordx4 v[6:9], v[2:3] offset:72
	flat_load_dwordx2 v[10:11], v[2:3] offset:96
	v_add_u32_e32 v1, v5, v1
	v_ashrrev_i32_e32 v5, 31, v1
	s_waitcnt vmcnt(0) lgkmcnt(0)
	v_mul_lo_u32 v5, v8, v5
	v_mad_u64_u32 v[6:7], s[10:11], v8, v1, v[6:7]
	v_mul_lo_u32 v1, v9, v1
	v_add3_u32 v7, v1, v7, v5
	v_accvgpr_write_b32 a6, v6
	v_lshrrev_b64 v[18:19], 13, v[10:11]
	v_accvgpr_write_b32 a7, v7
	v_pk_mov_b32 v[24:25], v[8:9], v[8:9] op_sel:[0,1]
                                        ; implicit-def: $vgpr8
                                        ; implicit-def: $vgpr1
.LBB12_3:
	s_andn2_saveexec_b64 s[6:7], s[6:7]
	s_cbranch_execz .LBB12_5
; %bb.4:
	flat_load_dwordx4 v[10:13], v[2:3] offset:72
	flat_load_dwordx4 v[24:27], v[2:3] offset:88
	v_add_u32_sdwa v1, v8, v1 dst_sel:DWORD dst_unused:UNUSED_PAD src0_sel:BYTE_1 src1_sel:DWORD
	v_ashrrev_i32_e32 v5, 31, v1
	s_waitcnt vmcnt(0) lgkmcnt(0)
	v_mul_lo_u32 v5, v12, v5
	v_mad_u64_u32 v[6:7], s[10:11], v12, v1, v[10:11]
	v_mul_lo_u32 v1, v13, v1
	v_add3_u32 v7, v1, v7, v5
	v_accvgpr_write_b32 a6, v6
	v_accvgpr_write_b32 a7, v7
	v_lshrrev_b32_e32 v18, 2, v27
.LBB12_5:
	s_or_b64 exec, exec, s[6:7]
.LBB12_6:
	s_andn2_saveexec_b64 s[4:5], s[4:5]
	s_cbranch_execz .LBB12_8
; %bb.7:
	flat_load_dwordx2 v[6:7], v[2:3] offset:96
	flat_load_dwordx2 v[24:25], v[2:3] offset:72
	s_waitcnt vmcnt(0) lgkmcnt(0)
	v_lshlrev_b64 v[18:19], 8, v[6:7]
	v_pk_mov_b32 v[6:7], 0, 0
	v_accvgpr_write_b32 a6, v6
	v_accvgpr_write_b32 a7, v7
.LBB12_8:
	s_or_b64 exec, exec, s[4:5]
	s_trap 2
	ds_read_b64 v[6:7], v0
	s_waitcnt lgkmcnt(0)
	v_cmp_ne_u32_e32 vcc, -1, v6
	v_cndmask_b32_e64 v1, 0, 1, vcc
	v_cmp_ne_u32_e32 vcc, -1, v7
	v_addc_co_u32_e64 v5, s[4:5], 0, v1, vcc
	v_lshlrev_b32_e32 v6, 1, v5
	v_cmp_le_i32_e64 s[4:5], v6, v29
	s_and_saveexec_b64 s[6:7], s[4:5]
	s_xor_b64 s[28:29], exec, s[6:7]
	s_cbranch_execz .LBB12_1491
; %bb.9:
	flat_load_dwordx4 v[10:13], v[2:3] offset:16
	flat_load_dwordx2 v[20:21], v[2:3] offset:104
	s_trap 2
	s_load_dword s4, s[8:9], 0x0
	v_mov_b32_e32 v2, 0
	v_mov_b32_e32 v62, 4
	s_waitcnt lgkmcnt(0)
	s_cmp_lt_u32 s12, s4
	s_cselect_b32 s4, 12, 18
	s_add_u32 s4, s8, s4
	s_addc_u32 s5, s9, 0
	global_load_ushort v30, v2, s[4:5]
	ds_read_b32 v2, v0
	v_cmp_ge_i32_e64 s[4:5], v0, v1
	s_waitcnt lgkmcnt(0)
	v_readfirstlane_b32 s12, v2
	s_and_saveexec_b64 s[6:7], s[4:5]
	s_cbranch_execz .LBB12_19
; %bb.10:
	v_cmp_le_u32_e64 s[4:5], v5, v0
                                        ; implicit-def: $vgpr62
	s_and_saveexec_b64 s[10:11], s[4:5]
	s_xor_b64 s[4:5], exec, s[10:11]
	s_cbranch_execz .LBB12_16
; %bb.11:
	v_cndmask_b32_e64 v2, 0, 1, vcc
	v_sub_u32_e32 v2, v29, v2
	v_cmp_ge_u32_e32 vcc, v0, v2
                                        ; implicit-def: $sgpr13
	s_and_saveexec_b64 s[10:11], vcc
	s_xor_b64 s[10:11], exec, s[10:11]
; %bb.12:
	s_mov_b32 s13, 16
                                        ; implicit-def: $vgpr5
; %bb.13:
	s_or_saveexec_b64 s[10:11], s[10:11]
	v_mov_b32_e32 v62, s13
	s_xor_b64 exec, exec, s[10:11]
; %bb.14:
	v_sub_u32_e32 v2, v29, v5
	v_cmp_ge_i32_e32 vcc, v0, v2
	v_cndmask_b32_e64 v2, 0, 1, vcc
	v_lshlrev_b32_e32 v62, 5, v2
; %bb.15:
	s_or_b64 exec, exec, s[10:11]
.LBB12_16:
	s_andn2_saveexec_b64 s[4:5], s[4:5]
; %bb.17:
	v_mov_b32_e32 v62, 8
; %bb.18:
	s_or_b64 exec, exec, s[4:5]
.LBB12_19:
	s_or_b64 exec, exec, s[6:7]
	v_and_b32_e32 v2, 36, v62
	v_cmp_ne_u32_e32 vcc, 0, v2
	v_mov_b32_e32 v2, -1
	s_and_saveexec_b64 s[4:5], vcc
	s_cbranch_execz .LBB12_21
; %bb.20:
	s_trap 2
	ds_read_b32 v2, v0
.LBB12_21:
	s_or_b64 exec, exec, s[4:5]
	v_and_b32_e32 v3, 24, v62
	v_cmp_ne_u32_e64 s[4:5], 0, v3
	s_and_saveexec_b64 s[6:7], s[4:5]
	s_cbranch_execz .LBB12_23
; %bb.22:
	s_trap 2
	s_waitcnt lgkmcnt(0)
	ds_read_b32 v2, v0
.LBB12_23:
	s_or_b64 exec, exec, s[6:7]
	v_lshrrev_b64 v[6:7], 31, v[16:17]
	v_pk_mov_b32 v[22:23], 0, 0
	v_and_b32_e32 v5, 3, v6
	s_waitcnt lgkmcnt(0)
	v_ashrrev_i32_e32 v3, 31, v2
	v_pk_mov_b32 v[48:49], v[22:23], v[22:23] op_sel:[0,1]
                                        ; implicit-def: $agpr8_agpr9
                                        ; implicit-def: $agpr18
                                        ; implicit-def: $vgpr46_vgpr47
                                        ; implicit-def: $agpr20_agpr21
                                        ; implicit-def: $agpr16_agpr17
	s_and_saveexec_b64 s[4:5], vcc
	s_cbranch_execz .LBB12_33
; %bb.24:
	s_trap 2
	ds_read_b64 v[6:7], v0
	v_lshlrev_b64 v[8:9], 3, v[2:3]
	s_movk_i32 s6, 0xa8
                                        ; implicit-def: $agpr8_agpr9
	s_waitcnt lgkmcnt(0)
	v_add_co_u32_e32 v6, vcc, v6, v8
	v_addc_co_u32_e32 v7, vcc, v7, v9, vcc
	flat_load_dwordx2 v[6:7], v[6:7]
	v_and_b32_e32 v8, 0xffff, v5
	s_waitcnt vmcnt(0) lgkmcnt(0)
	v_mad_u64_u32 v[6:7], s[6:7], v8, s6, v[6:7]
	flat_load_dword v8, v[6:7] offset:640
	v_add_co_u32_e32 v22, vcc, 0x1f8, v6
	v_addc_co_u32_e32 v23, vcc, 0, v7, vcc
	s_waitcnt vmcnt(0) lgkmcnt(0)
	v_cmp_eq_u32_e32 vcc, 1, v8
	s_and_saveexec_b64 s[6:7], vcc
	s_cbranch_execz .LBB12_26
; %bb.25:
	flat_load_dwordx2 v[8:9], v[22:23] offset:144
	v_or_b32_e32 v62, 0x2000, v62
	s_waitcnt vmcnt(0) lgkmcnt(0)
	flat_load_dwordx2 v[6:7], v[8:9]
	s_trap 2
	v_accvgpr_write_b32 a8, v8
	v_accvgpr_write_b32 a9, v9
	s_waitcnt vmcnt(0) lgkmcnt(0)
	ds_write_b64 v0, v[6:7]
	flat_load_dwordx2 v[6:7], v[8:9] offset:8
	s_waitcnt vmcnt(0) lgkmcnt(0)
	ds_write_b64 v0, v[6:7]
	flat_load_dwordx2 v[6:7], v[8:9] offset:16
	s_waitcnt vmcnt(0) lgkmcnt(0)
	ds_write_b64 v0, v[6:7]
.LBB12_26:
	s_or_b64 exec, exec, s[6:7]
	flat_load_dwordx2 v[50:51], v[22:23] offset:104
	v_and_b32_e32 v6, 32, v62
	v_cmp_ne_u32_e32 vcc, 0, v6
                                        ; implicit-def: $agpr16_agpr17
	s_and_saveexec_b64 s[6:7], vcc
	s_cbranch_execz .LBB12_28
; %bb.27:
	flat_load_dwordx2 v[6:7], v[22:23] offset:56
	s_waitcnt vmcnt(0) lgkmcnt(0)
	v_accvgpr_write_b32 a17, v7
	v_accvgpr_write_b32 a16, v6
	flat_store_dwordx2 v[6:7], v[50:51]
.LBB12_28:
	s_or_b64 exec, exec, s[6:7]
	v_and_b32_e32 v6, 4, v62
	v_cmp_ne_u32_e32 vcc, 0, v6
	v_pk_mov_b32 v[48:49], 0, 0
                                        ; implicit-def: $agpr18
                                        ; implicit-def: $vgpr46_vgpr47
                                        ; implicit-def: $agpr20_agpr21
	s_and_saveexec_b64 s[6:7], vcc
	s_cbranch_execz .LBB12_32
; %bb.29:
	v_and_b32_e32 v6, 0x800, v62
	v_cmp_eq_u32_e32 vcc, 0, v6
	s_and_saveexec_b64 s[10:11], vcc
	s_cbranch_execz .LBB12_31
; %bb.30:
	s_trap 2
	ds_write_b64 v0, v[22:23]
.LBB12_31:
	s_or_b64 exec, exec, s[10:11]
	flat_load_dwordx2 v[6:7], v[22:23] offset:48
	s_waitcnt vmcnt(0) lgkmcnt(0)
	v_accvgpr_write_b32 a17, v7
	v_accvgpr_write_b32 a16, v6
	flat_load_dwordx2 v[46:47], v[6:7] glc
	s_nop 0
	flat_load_dword v6, v[22:23] offset:72
	flat_load_dwordx2 v[48:49], v[22:23] offset:96
	flat_load_dwordx2 a[20:21], v[22:23] offset:16
	v_or_b32_e32 v7, 0x100, v62
	s_waitcnt vmcnt(0) lgkmcnt(0)
	v_ashrrev_i32_e32 v6, 1, v6
	v_cmp_eq_u64_e32 vcc, 0, v[48:49]
	v_accvgpr_write_b32 a18, v6
	v_cndmask_b32_e32 v62, v7, v62, vcc
.LBB12_32:
	s_or_b64 exec, exec, s[6:7]
.LBB12_33:
	s_or_b64 exec, exec, s[4:5]
	v_and_b32_e32 v6, 24, v62
	v_cmp_ne_u32_e32 vcc, 0, v6
                                        ; implicit-def: $agpr26_agpr27
	s_and_saveexec_b64 s[4:5], vcc
	s_cbranch_execz .LBB12_41
; %bb.34:
	s_trap 2
	ds_read_b64 v[6:7], v0
	v_lshlrev_b64 v[2:3], 3, v[2:3]
	v_and_b32_e32 v5, 0xffff, v5
	s_movk_i32 s6, 0xa8
                                        ; implicit-def: $agpr26_agpr27
	s_waitcnt lgkmcnt(0)
	v_add_co_u32_e32 v2, vcc, v6, v2
	v_addc_co_u32_e32 v3, vcc, v7, v3, vcc
	flat_load_dwordx2 v[2:3], v[2:3]
	s_waitcnt vmcnt(0) lgkmcnt(0)
	v_mad_u64_u32 v[22:23], s[6:7], v5, s6, v[2:3]
	flat_load_dwordx4 v[48:51], v[22:23] offset:96
	v_or_b32_e32 v2, 0x100, v62
	s_waitcnt vmcnt(0) lgkmcnt(0)
	v_cmp_eq_u64_e32 vcc, 0, v[48:49]
	v_cndmask_b32_e32 v62, v2, v62, vcc
	v_and_b32_e32 v2, 16, v62
	v_cmp_ne_u32_e32 vcc, 0, v2
	s_and_saveexec_b64 s[6:7], vcc
	s_cbranch_execz .LBB12_36
; %bb.35:
	flat_load_dwordx2 a[26:27], v[22:23] offset:120
	flat_load_dwordx2 a[16:17], v[22:23] offset:48
	;; [unrolled: 1-line block ×3, first 2 shown]
.LBB12_36:
	s_or_b64 exec, exec, s[6:7]
	v_and_b32_e32 v2, 8, v62
	v_cmp_ne_u32_e32 vcc, 0, v2
	s_and_saveexec_b64 s[6:7], vcc
	s_cbranch_execz .LBB12_40
; %bb.37:
	v_and_b32_e32 v2, 0x800, v62
	v_cmp_eq_u32_e32 vcc, 0, v2
	s_and_saveexec_b64 s[10:11], vcc
	s_cbranch_execz .LBB12_39
; %bb.38:
	s_trap 2
	ds_write_b64 v0, v[22:23]
.LBB12_39:
	s_or_b64 exec, exec, s[10:11]
	flat_load_dwordx2 v[2:3], v[22:23] offset:56
	s_waitcnt vmcnt(0) lgkmcnt(0)
	v_accvgpr_write_b32 a17, v3
	v_accvgpr_write_b32 a16, v2
	flat_load_dwordx2 v[46:47], v[2:3] glc
	s_nop 0
	flat_load_dword v2, v[22:23] offset:72
	flat_load_dwordx2 a[20:21], v[22:23] offset:16
	s_waitcnt vmcnt(0) lgkmcnt(0)
	v_ashrrev_i32_e32 v2, 1, v2
	v_accvgpr_write_b32 a18, v2
.LBB12_40:
	s_or_b64 exec, exec, s[6:7]
.LBB12_41:
	s_or_b64 exec, exec, s[4:5]
	v_cmp_eq_u32_e64 s[4:5], 0, v0
	s_and_saveexec_b64 s[6:7], s[4:5]
	s_cbranch_execz .LBB12_43
; %bb.42:
	s_waitcnt vmcnt(0)
	v_mov_b32_e32 v2, v12
	v_mov_b32_e32 v3, v13
	;; [unrolled: 1-line block ×4, first 2 shown]
	ds_write2_b64 v0, v[2:3], v[6:7] offset1:1
	v_mov_b32_e32 v2, 0
	v_mov_b32_e32 v3, v2
	s_trap 2
	ds_write_b64 v0, v[2:3]
	ds_write_b64 v0, v[20:21]
.LBB12_43:
	s_or_b64 exec, exec, s[6:7]
	s_ashr_i32 s6, s12, 31
	s_lshr_b32 s6, s6, 29
	s_add_i32 s12, s12, s6
	v_bfe_u32 v2, v16, 1, 30
	v_and_b32_e32 v52, 0x1fffff00, v18
	v_mov_b32_e32 v53, 0
	s_ashr_i32 s64, s12, 4
	v_cmp_ne_u32_e32 vcc, v4, v2
                                        ; implicit-def: $vgpr26_vgpr27
	s_and_saveexec_b64 s[6:7], vcc
	s_xor_b64 s[30:31], exec, s[6:7]
	s_cbranch_execz .LBB12_1253
; %bb.44:
	v_cmp_ne_u32_e32 vcc, v14, v2
	v_cmp_ne_u64_e64 s[6:7], 0, v[24:25]
                                        ; implicit-def: $vgpr26_vgpr27
	s_and_saveexec_b64 s[10:11], vcc
	s_xor_b64 s[34:35], exec, s[10:11]
	s_cbranch_execz .LBB12_654
; %bb.45:
	v_pk_mov_b32 v[26:27], 0, 0
	s_and_saveexec_b64 s[36:37], s[6:7]
	s_cbranch_execz .LBB12_653
; %bb.46:
	v_accvgpr_read_b32 v2, a18
	v_ashrrev_i32_e32 v3, 31, v2
	v_and_b32_e32 v2, 63, v31
	v_cmp_eq_u32_e64 s[14:15], 0, v2
	v_ashrrev_i32_e32 v2, 31, v0
	v_lshrrev_b32_e32 v2, 26, v2
	s_lshr_b32 s10, s64, 27
	v_add_u32_e32 v2, v0, v2
	s_add_i32 s10, s64, s10
	v_accvgpr_write_b32 a3, v3
	v_and_b32_e32 v3, 0xffffffc0, v2
	s_ashr_i32 s65, s10, 5
	v_cmp_ge_i32_e64 s[10:11], v0, v29
	v_sub_u32_e32 v0, v0, v3
	v_cmp_le_i32_e64 s[16:17], v0, v1
	v_cmp_lt_i32_e64 s[18:19], v0, v1
	v_ashrrev_i32_e32 v1, 6, v2
	v_accvgpr_write_b32 a19, v0
	v_lshlrev_b32_e32 v0, 4, v0
	v_lshl_add_u32 v0, v1, 11, v0
	v_lshrrev_b32_e32 v42, 6, v29
	v_accvgpr_write_b32 a28, v1
	v_accvgpr_write_b32 a30, v0
	v_ashrrev_i32_e32 v1, 31, v0
	v_mov_b32_e32 v0, 0xfffff800
	v_lshl_add_u32 v0, v42, 11, v0
	s_movk_i32 s66, 0x800
	v_accvgpr_write_b32 a29, v1
	v_ashrrev_i32_e32 v1, 31, v0
	v_add_co_u32_e64 v43, s[20:21], s66, v0
	v_accvgpr_write_b32 a32, v0
	v_addc_co_u32_e64 v0, s[20:21], 0, v1, s[20:21]
	v_accvgpr_write_b32 a33, v0
	v_lshrrev_b32_e64 v0, 6, s33
	v_add_u32_e32 v0, 0xb0, v0
	v_add_u32_e32 v28, 16, v0
	v_lshrrev_b32_e64 v0, 6, s33
	v_cmp_eq_u32_e32 vcc, 64, v29
	v_cmp_ne_u32_e64 s[12:13], 64, v29
	s_waitcnt vmcnt(0)
	v_cmp_ne_u32_sdwa s[38:39], v30, v29 src0_sel:WORD_0 src1_sel:DWORD
	v_accvgpr_write_b32 a0, v29
	v_add_u32_e32 v0, 0x90, v0
	v_lshlrev_b32_e32 v29, 10, v42
	v_accvgpr_write_b32 a10, v22
	v_add_u32_e32 v54, 16, v0
	v_add_u32_e32 v0, 0xfffffc00, v29
	s_movk_i32 s67, 0x400
	v_accvgpr_write_b32 a11, v23
	v_accvgpr_write_b32 a31, v1
	v_ashrrev_i32_e32 v1, 31, v0
	v_accvgpr_write_b32 a36, v0
	v_add_co_u32_e64 v0, s[20:21], s67, v0
	v_lshlrev_b32_e32 v23, 7, v42
	v_accvgpr_write_b32 a38, v0
	v_addc_co_u32_e64 v0, s[20:21], 0, v1, s[20:21]
	v_add_u32_e32 v32, 0xffffff80, v23
	s_movk_i32 s22, 0x80
	v_accvgpr_write_b32 a37, v1
	v_accvgpr_write_b32 a39, v0
	s_waitcnt lgkmcnt(0)
	v_accvgpr_read_b32 v0, a26
	v_ashrrev_i32_e32 v35, 31, v32
	v_add_co_u32_e64 v36, s[22:23], s22, v32
	v_accvgpr_read_b32 v1, a27
	v_addc_co_u32_e64 v37, s[22:23], 0, v35, s[22:23]
	v_pk_mov_b32 v[56:57], 0, 0
	v_accvgpr_write_b32 a4, v24
	v_accvgpr_write_b32 a24, v52
	;; [unrolled: 1-line block ×4, first 2 shown]
	v_mov_b32_e32 v60, 0
	s_mov_b64 s[40:41], 0
	v_cmp_eq_u64_e64 s[20:21], 0, v[0:1]
	s_movk_i32 s68, 0x270e
	s_movk_i32 s69, 0x108
	v_mov_b32_e32 v38, 1
	s_xor_b64 s[42:43], vcc, -1
	s_mov_b32 s70, 0x7f800000
	s_movk_i32 s71, 0x7fff
	s_mov_b32 s72, 0xffff0000
	v_mov_b32_e32 v39, 0x80
	v_pk_mov_b32 v[26:27], v[56:57], v[56:57] op_sel:[0,1]
	v_accvgpr_write_b32 a5, v25
	v_accvgpr_write_b32 a25, v53
	;; [unrolled: 1-line block ×9, first 2 shown]
	s_trap 2
	s_branch .LBB12_49
.LBB12_47:                              ;   in Loop: Header=BB12_49 Depth=1
	s_or_b64 exec, exec, s[22:23]
.LBB12_48:                              ;   in Loop: Header=BB12_49 Depth=1
	s_or_b64 exec, exec, s[24:25]
	v_add_co_u32_e32 v56, vcc, v56, v52
	v_addc_co_u32_e32 v57, vcc, 0, v57, vcc
	v_cmp_ge_u64_e32 vcc, v[56:57], v[24:25]
	s_or_b64 s[40:41], vcc, s[40:41]
	s_andn2_b64 exec, exec, s[40:41]
	s_cbranch_execz .LBB12_652
.LBB12_49:                              ; =>This Loop Header: Depth=1
                                        ;     Child Loop BB12_58 Depth 2
                                        ;     Child Loop BB12_86 Depth 2
                                        ;     Child Loop BB12_105 Depth 2
                                        ;     Child Loop BB12_126 Depth 2
                                        ;     Child Loop BB12_329 Depth 2
                                        ;       Child Loop BB12_330 Depth 3
                                        ;       Child Loop BB12_367 Depth 3
                                        ;     Child Loop BB12_444 Depth 2
                                        ;     Child Loop BB12_551 Depth 2
                                        ;       Child Loop BB12_552 Depth 3
                                        ;       Child Loop BB12_561 Depth 3
                                        ;     Child Loop BB12_582 Depth 2
                                        ;     Child Loop BB12_607 Depth 2
	;; [unrolled: 1-line block ×3, first 2 shown]
	v_sub_co_u32_e32 v0, vcc, v24, v56
	v_subb_co_u32_e32 v1, vcc, v25, v57, vcc
	v_cmp_lt_u64_e32 vcc, v[52:53], v[0:1]
	v_cndmask_b32_e64 v31, v1, 0, vcc
	v_cndmask_b32_e32 v30, v0, v52, vcc
	v_add_u32_e32 v0, 15, v30
	v_cmp_eq_u64_e32 vcc, 0, v[30:31]
	v_and_b32_e32 v0, 0x3ffffff0, v0
	s_or_b64 s[44:45], s[10:11], vcc
	v_max_i32_e32 v55, s65, v0
	s_xor_b64 s[22:23], s[44:45], -1
	v_mov_b32_e32 v1, 0
	s_and_saveexec_b64 s[46:47], s[22:23]
	s_cbranch_execz .LBB12_600
; %bb.50:                               ;   in Loop: Header=BB12_49 Depth=1
	s_and_saveexec_b64 s[22:23], s[4:5]
	s_cbranch_execz .LBB12_52
; %bb.51:                               ;   in Loop: Header=BB12_49 Depth=1
	s_trap 2
	ds_read_b64 v[0:1], v0
	v_accvgpr_read_b32 v2, a6
	v_accvgpr_read_b32 v3, a7
	v_lshlrev_b64 v[2:3], 1, v[2:3]
	v_mov_b32_e32 v61, v60
	s_waitcnt lgkmcnt(0)
	v_add_co_u32_e32 v2, vcc, v0, v2
	v_addc_co_u32_e32 v3, vcc, v1, v3, vcc
	v_lshlrev_b64 v[0:1], 1, v[56:57]
	v_add_co_u32_e32 v0, vcc, v2, v0
	v_addc_co_u32_e32 v1, vcc, v3, v1, vcc
	ds_write_b64 v0, v[0:1]
	ds_write_b64 v0, v[60:61]
.LBB12_52:                              ;   in Loop: Header=BB12_49 Depth=1
	s_or_b64 exec, exec, s[22:23]
	v_and_b32_e32 v0, 12, v62
	v_cmp_ne_u32_e32 vcc, 0, v0
	s_mov_b64 s[24:25], -1
	s_and_saveexec_b64 s[22:23], vcc
	s_cbranch_execz .LBB12_64
; %bb.53:                               ;   in Loop: Header=BB12_49 Depth=1
	v_and_b32_e32 v0, 8, v62
	v_add_co_u32_e32 v4, vcc, v46, v0
	v_addc_co_u32_e32 v5, vcc, 0, v47, vcc
	v_add_co_u32_e32 v2, vcc, 1, v50
	v_addc_co_u32_e32 v3, vcc, 0, v51, vcc
	v_cmp_lt_u64_e32 vcc, v[4:5], v[2:3]
	v_mov_b32_e32 v1, 1
	s_and_saveexec_b64 s[24:25], vcc
	s_cbranch_execz .LBB12_63
; %bb.54:                               ;   in Loop: Header=BB12_49 Depth=1
	s_mov_b64 s[26:27], 0
	v_mov_b32_e32 v1, 0
                                        ; implicit-def: $sgpr48_sgpr49
	s_branch .LBB12_58
.LBB12_55:                              ;   in Loop: Header=BB12_58 Depth=2
	s_or_b64 exec, exec, s[56:57]
	v_mov_b32_e32 v4, 0
	s_orn2_b64 s[54:55], s[54:55], exec
.LBB12_56:                              ;   in Loop: Header=BB12_58 Depth=2
	s_or_b64 exec, exec, s[52:53]
	s_andn2_b64 vcc, s[48:49], exec
	s_and_b64 s[48:49], s[54:55], exec
	s_or_b64 s[48:49], vcc, s[48:49]
	v_mov_b32_e32 v1, v4
.LBB12_57:                              ;   in Loop: Header=BB12_58 Depth=2
	s_or_b64 exec, exec, s[50:51]
	s_waitcnt vmcnt(0) lgkmcnt(0)
	v_add_co_u32_e32 v4, vcc, v46, v0
	v_addc_co_u32_e32 v5, vcc, 0, v47, vcc
	v_cmp_ge_u64_e32 vcc, v[4:5], v[2:3]
	s_xor_b64 s[50:51], s[48:49], -1
	s_or_b64 vcc, s[50:51], vcc
	s_and_b64 vcc, exec, vcc
	s_or_b64 s[26:27], vcc, s[26:27]
	s_andn2_b64 exec, exec, s[26:27]
	s_cbranch_execz .LBB12_62
.LBB12_58:                              ;   Parent Loop BB12_49 Depth=1
                                        ; =>  This Inner Loop Header: Depth=2
	v_accvgpr_read_b32 v4, a16
	v_accvgpr_read_b32 v5, a17
	s_sleep 1
	flat_load_dwordx2 v[46:47], v[4:5] glc
	v_and_b32_e32 v4, 64, v62
	v_cmp_eq_u32_e32 vcc, 0, v4
	s_andn2_b64 s[48:49], s[48:49], exec
	s_and_saveexec_b64 s[50:51], vcc
	s_cbranch_execz .LBB12_57
; %bb.59:                               ;   in Loop: Header=BB12_58 Depth=2
	v_add_u32_e32 v4, 1, v1
	v_cmp_lt_i32_e32 vcc, s68, v1
	s_mov_b64 s[54:55], -1
	s_and_saveexec_b64 s[52:53], vcc
	s_cbranch_execz .LBB12_56
; %bb.60:                               ;   in Loop: Header=BB12_58 Depth=2
	s_trap 2
	ds_read_b64 v[4:5], v0
	s_waitcnt vmcnt(0) lgkmcnt(0)
	flat_load_dword v1, v[4:5] glc
	s_waitcnt vmcnt(0) lgkmcnt(0)
	buffer_invl2
	buffer_wbinvl1_vol
	v_cmp_ne_u32_e32 vcc, 0, v1
	s_and_saveexec_b64 s[56:57], vcc
	s_cbranch_execz .LBB12_55
; %bb.61:                               ;   in Loop: Header=BB12_58 Depth=2
	v_or_b32_e32 v62, 64, v62
	s_xor_b64 s[54:55], exec, -1
	ds_write_b32 v0, v1
	s_trap 2
	s_branch .LBB12_55
.LBB12_62:                              ;   in Loop: Header=BB12_49 Depth=1
	s_or_b64 exec, exec, s[26:27]
	v_and_b32_e32 v1, 12, v62
.LBB12_63:                              ;   in Loop: Header=BB12_49 Depth=1
	s_or_b64 exec, exec, s[24:25]
	v_cmp_eq_u32_e32 vcc, 0, v1
	s_orn2_b64 s[24:25], vcc, exec
	;;#ASMSTART
	s_wakeup
	;;#ASMEND
.LBB12_64:                              ;   in Loop: Header=BB12_49 Depth=1
	s_or_b64 exec, exec, s[22:23]
	s_xor_b64 s[22:23], s[24:25], -1
	v_min_u32_e32 v55, v55, v30
	s_and_saveexec_b64 s[24:25], s[22:23]
	s_cbranch_execz .LBB12_78
; %bb.65:                               ;   in Loop: Header=BB12_49 Depth=1
	v_and_b32_e32 v0, 0x108, v62
	v_cmp_ne_u32_e32 vcc, s69, v0
	v_and_b32_e32 v0, 7, v50
	s_and_saveexec_b64 s[22:23], vcc
	s_xor_b64 s[22:23], exec, s[22:23]
                                        ; implicit-def: $vgpr2_vgpr3
; %bb.66:                               ;   in Loop: Header=BB12_49 Depth=1
	v_mov_b32_e32 v3, v60
; %bb.67:                               ;   in Loop: Header=BB12_49 Depth=1
	s_andn2_saveexec_b64 s[22:23], s[22:23]
	s_cbranch_execz .LBB12_69
; %bb.68:                               ;   in Loop: Header=BB12_49 Depth=1
	v_mov_b32_e32 v3, v60
	v_mad_u64_u32 v[4:5], s[26:27], v0, 24, v[48:49]
	v_lshlrev_b32_e32 v6, 1, v55
	v_mov_b32_e32 v7, v60
	flat_store_dwordx2 v[4:5], v[6:7] offset:8
.LBB12_69:                              ;   in Loop: Header=BB12_49 Depth=1
	s_or_b64 exec, exec, s[22:23]
	v_and_b32_e32 v1, 0x100, v62
	v_cmp_ne_u32_e32 vcc, 0, v1
	s_mov_b64 s[22:23], -1
                                        ; implicit-def: $vgpr10_vgpr11
	s_and_saveexec_b64 s[26:27], vcc
	s_cbranch_execz .LBB12_73
; %bb.70:                               ;   in Loop: Header=BB12_49 Depth=1
	v_mad_u64_u32 v[12:13], s[22:23], v0, 24, v[48:49]
	v_mov_b32_e32 v2, v13
	v_mad_u64_u32 v[4:5], s[22:23], v3, 24, v[2:3]
	v_mov_b32_e32 v13, v4
	flat_load_dword v1, v[12:13]
                                        ; implicit-def: $vgpr10_vgpr11
	s_waitcnt vmcnt(0) lgkmcnt(0)
	v_cmp_ne_u32_e32 vcc, 1, v1
	v_cmp_eq_u32_e64 s[22:23], 1, v1
	s_and_saveexec_b64 s[48:49], s[22:23]
	s_cbranch_execz .LBB12_72
; %bb.71:                               ;   in Loop: Header=BB12_49 Depth=1
	flat_load_dword v4, v[12:13] offset:4 glc
	s_waitcnt vmcnt(0) lgkmcnt(0)
	v_ashrrev_i32_e32 v5, 31, v4
	v_lshrrev_b64 v[10:11], 1, v[4:5]
.LBB12_72:                              ;   in Loop: Header=BB12_49 Depth=1
	s_or_b64 exec, exec, s[48:49]
	s_orn2_b64 s[22:23], vcc, exec
.LBB12_73:                              ;   in Loop: Header=BB12_49 Depth=1
	s_or_b64 exec, exec, s[26:27]
	s_and_saveexec_b64 s[26:27], s[22:23]
; %bb.74:                               ;   in Loop: Header=BB12_49 Depth=1
	v_accvgpr_read_b32 v4, a18
	v_mul_lo_u32 v1, v3, v4
	v_accvgpr_read_b32 v3, a3
	v_mul_lo_u32 v2, v0, v3
	v_mad_u64_u32 v[10:11], s[22:23], v0, v4, 0
	v_add3_u32 v11, v11, v2, v1
; %bb.75:                               ;   in Loop: Header=BB12_49 Depth=1
	s_or_b64 exec, exec, s[26:27]
	v_lshlrev_b64 v[0:1], 1, v[10:11]
	v_accvgpr_read_b32 v2, a20
	v_accvgpr_read_b32 v3, a21
	v_add_co_u32_e32 v0, vcc, v2, v0
	v_addc_co_u32_e32 v1, vcc, v3, v1, vcc
	s_trap 2
	ds_write_b64 v0, v[0:1]
	v_and_b32_e32 v0, 0x2000, v62
	v_cmp_ne_u32_e32 vcc, 0, v0
	s_and_saveexec_b64 s[22:23], vcc
	s_cbranch_execz .LBB12_77
; %bb.76:                               ;   in Loop: Header=BB12_49 Depth=1
	ds_read_b64 v[0:1], v0 offset:584
	s_waitcnt lgkmcnt(0)
	v_add_co_u32_e32 v0, vcc, 1, v0
	v_addc_co_u32_e32 v1, vcc, 0, v1, vcc
	ds_write_b64 v0, v[0:1] offset:584
.LBB12_77:                              ;   in Loop: Header=BB12_49 Depth=1
	s_or_b64 exec, exec, s[22:23]
	v_add_co_u32_e32 v50, vcc, 1, v50
	v_addc_co_u32_e32 v51, vcc, 0, v51, vcc
.LBB12_78:                              ;   in Loop: Header=BB12_49 Depth=1
	s_or_b64 exec, exec, s[24:25]
	s_and_saveexec_b64 s[22:23], s[12:13]
	s_cbranch_execz .LBB12_97
; %bb.79:                               ;   in Loop: Header=BB12_49 Depth=1
	s_and_saveexec_b64 s[24:25], s[38:39]
	s_xor_b64 s[24:25], exec, s[24:25]
	s_cbranch_execz .LBB12_94
; %bb.80:                               ;   in Loop: Header=BB12_49 Depth=1
	s_and_saveexec_b64 s[26:27], s[14:15]
	s_cbranch_execz .LBB12_93
; %bb.81:                               ;   in Loop: Header=BB12_49 Depth=1
	s_mov_b64 s[50:51], exec
	v_mbcnt_lo_u32_b32 v0, s50, 0
	v_mbcnt_hi_u32_b32 v0, s51, v0
	v_cmp_eq_u32_e32 vcc, 0, v0
	s_waitcnt vmcnt(0) lgkmcnt(0)
	buffer_wbinvl1_vol
	s_and_saveexec_b64 s[48:49], vcc
	s_cbranch_execz .LBB12_83
; %bb.82:                               ;   in Loop: Header=BB12_49 Depth=1
	s_bcnt1_i32_b64 vcc_lo, s[50:51]
	v_mov_b32_e32 v0, vcc_lo
	v_mov_b32_e32 v1, v60
	ds_add_u64 v0, v[0:1]
	s_trap 2
.LBB12_83:                              ;   in Loop: Header=BB12_49 Depth=1
	s_or_b64 exec, exec, s[48:49]
	s_trap 2
	ds_read_b64 v[0:1], v0
	v_add_co_u32_e32 v26, vcc, v26, v42
	v_addc_co_u32_e32 v27, vcc, 0, v27, vcc
	s_waitcnt lgkmcnt(0)
	v_cmp_lt_u64_e32 vcc, v[0:1], v[26:27]
	s_and_saveexec_b64 s[48:49], vcc
	s_cbranch_execz .LBB12_92
; %bb.84:                               ;   in Loop: Header=BB12_49 Depth=1
	s_mov_b32 s60, 0
	s_mov_b64 s[50:51], 0
                                        ; implicit-def: $sgpr52_sgpr53
                                        ; implicit-def: $sgpr54_sgpr55
	s_branch .LBB12_86
.LBB12_85:                              ;   in Loop: Header=BB12_86 Depth=2
	s_or_b64 exec, exec, s[58:59]
	s_and_b64 vcc, exec, vcc
	s_or_b64 s[50:51], vcc, s[50:51]
	s_andn2_b64 vcc, s[52:53], exec
	s_and_b64 s[52:53], s[54:55], exec
	s_or_b64 s[52:53], vcc, s[52:53]
	s_andn2_b64 exec, exec, s[50:51]
	s_cbranch_execz .LBB12_90
.LBB12_86:                              ;   Parent Loop BB12_49 Depth=1
                                        ; =>  This Inner Loop Header: Depth=2
	s_add_i32 s60, s60, 1
	s_cmpk_lg_i32 s60, 0x2710
	s_cselect_b64 s[56:57], -1, 0
	s_and_b64 vcc, exec, s[56:57]
                                        ; implicit-def: $sgpr58_sgpr59
	s_cbranch_vccnz .LBB12_88
; %bb.87:                               ;   in Loop: Header=BB12_86 Depth=2
	s_trap 2
	ds_read_b64 v[0:1], v0
	s_andn2_b64 s[56:57], s[56:57], exec
	s_mov_b32 s60, 0
	s_mov_b64 s[58:59], -1
	s_waitcnt lgkmcnt(0)
	flat_load_dword v0, v[0:1] glc
	s_waitcnt vmcnt(0) lgkmcnt(0)
	buffer_invl2
	buffer_wbinvl1_vol
	v_cmp_eq_u32_e32 vcc, 0, v0
	s_and_b64 vcc, vcc, exec
	s_or_b64 s[56:57], s[56:57], vcc
.LBB12_88:                              ;   in Loop: Header=BB12_86 Depth=2
	s_andn2_b64 s[54:55], s[54:55], exec
	s_and_b64 s[58:59], s[58:59], exec
	s_mov_b64 vcc, -1
	s_or_b64 s[54:55], s[54:55], s[58:59]
	s_and_saveexec_b64 s[58:59], s[56:57]
	s_cbranch_execz .LBB12_85
; %bb.89:                               ;   in Loop: Header=BB12_86 Depth=2
	s_sleep 1
	s_trap 2
	ds_read_b64 v[0:1], v0
	s_andn2_b64 s[54:55], s[54:55], exec
	s_waitcnt lgkmcnt(0)
	v_cmp_ge_u64_e32 vcc, v[0:1], v[26:27]
	s_orn2_b64 vcc, vcc, exec
	s_branch .LBB12_85
.LBB12_90:                              ;   in Loop: Header=BB12_49 Depth=1
	s_or_b64 exec, exec, s[50:51]
	s_and_saveexec_b64 vcc, s[52:53]
	s_xor_b64 vcc, exec, vcc
	s_cbranch_execz .LBB12_92
; %bb.91:                               ;   in Loop: Header=BB12_49 Depth=1
	ds_write_b32 v0, v38
	s_trap 2
.LBB12_92:                              ;   in Loop: Header=BB12_49 Depth=1
	s_or_b64 exec, exec, s[48:49]
	;;#ASMSTART
	s_wakeup
	;;#ASMEND
.LBB12_93:                              ;   in Loop: Header=BB12_49 Depth=1
	s_or_b64 exec, exec, s[26:27]
.LBB12_94:                              ;   in Loop: Header=BB12_49 Depth=1
	s_andn2_saveexec_b64 s[24:25], s[24:25]
	s_cbranch_execz .LBB12_96
; %bb.95:                               ;   in Loop: Header=BB12_49 Depth=1
	s_waitcnt vmcnt(0) lgkmcnt(0)
	buffer_wbinvl1_vol
	s_barrier
.LBB12_96:                              ;   in Loop: Header=BB12_49 Depth=1
	s_or_b64 exec, exec, s[24:25]
.LBB12_97:                              ;   in Loop: Header=BB12_49 Depth=1
	s_or_b64 exec, exec, s[22:23]
	s_trap 2
	ds_read_b32 v0, v0
	v_and_b32_e32 v1, 0x4000, v62
	v_cmp_ne_u32_e32 vcc, 0, v1
	s_and_b64 s[24:25], s[42:43], vcc
	s_and_saveexec_b64 s[22:23], s[24:25]
	s_cbranch_execz .LBB12_116
; %bb.98:                               ;   in Loop: Header=BB12_49 Depth=1
	s_and_saveexec_b64 s[24:25], s[38:39]
	s_xor_b64 s[24:25], exec, s[24:25]
	s_cbranch_execz .LBB12_113
; %bb.99:                               ;   in Loop: Header=BB12_49 Depth=1
	s_and_saveexec_b64 s[26:27], s[14:15]
	s_cbranch_execz .LBB12_112
; %bb.100:                              ;   in Loop: Header=BB12_49 Depth=1
	s_mov_b64 s[50:51], exec
	v_mbcnt_lo_u32_b32 v1, s50, 0
	v_mbcnt_hi_u32_b32 v1, s51, v1
	v_cmp_eq_u32_e32 vcc, 0, v1
	s_waitcnt vmcnt(0) lgkmcnt(0)
	buffer_wbinvl1_vol
	s_and_saveexec_b64 s[48:49], vcc
	s_cbranch_execz .LBB12_102
; %bb.101:                              ;   in Loop: Header=BB12_49 Depth=1
	s_bcnt1_i32_b64 vcc_lo, s[50:51]
	v_mov_b32_e32 v2, vcc_lo
	v_mov_b32_e32 v3, v60
	ds_add_u64 v0, v[2:3]
	s_trap 2
.LBB12_102:                             ;   in Loop: Header=BB12_49 Depth=1
	s_or_b64 exec, exec, s[48:49]
	s_trap 2
	ds_read_b64 v[2:3], v0
	v_add_co_u32_e32 v26, vcc, v26, v42
	v_addc_co_u32_e32 v27, vcc, 0, v27, vcc
	s_waitcnt lgkmcnt(0)
	v_cmp_lt_u64_e32 vcc, v[2:3], v[26:27]
	s_and_saveexec_b64 s[48:49], vcc
	s_cbranch_execz .LBB12_111
; %bb.103:                              ;   in Loop: Header=BB12_49 Depth=1
	s_mov_b32 s60, 0
	s_mov_b64 s[50:51], 0
                                        ; implicit-def: $sgpr52_sgpr53
                                        ; implicit-def: $sgpr54_sgpr55
	s_branch .LBB12_105
.LBB12_104:                             ;   in Loop: Header=BB12_105 Depth=2
	s_or_b64 exec, exec, s[58:59]
	s_and_b64 vcc, exec, vcc
	s_or_b64 s[50:51], vcc, s[50:51]
	s_andn2_b64 vcc, s[52:53], exec
	s_and_b64 s[52:53], s[54:55], exec
	s_or_b64 s[52:53], vcc, s[52:53]
	s_andn2_b64 exec, exec, s[50:51]
	s_cbranch_execz .LBB12_109
.LBB12_105:                             ;   Parent Loop BB12_49 Depth=1
                                        ; =>  This Inner Loop Header: Depth=2
	s_add_i32 s60, s60, 1
	s_cmpk_lg_i32 s60, 0x2710
	s_cselect_b64 s[56:57], -1, 0
	s_and_b64 vcc, exec, s[56:57]
                                        ; implicit-def: $sgpr58_sgpr59
	s_cbranch_vccnz .LBB12_107
; %bb.106:                              ;   in Loop: Header=BB12_105 Depth=2
	s_trap 2
	ds_read_b64 v[2:3], v0
	s_andn2_b64 s[56:57], s[56:57], exec
	s_mov_b32 s60, 0
	s_mov_b64 s[58:59], -1
	s_waitcnt lgkmcnt(0)
	flat_load_dword v1, v[2:3] glc
	s_waitcnt vmcnt(0) lgkmcnt(0)
	buffer_invl2
	buffer_wbinvl1_vol
	v_cmp_eq_u32_e32 vcc, 0, v1
	s_and_b64 vcc, vcc, exec
	s_or_b64 s[56:57], s[56:57], vcc
.LBB12_107:                             ;   in Loop: Header=BB12_105 Depth=2
	s_andn2_b64 s[54:55], s[54:55], exec
	s_and_b64 s[58:59], s[58:59], exec
	s_mov_b64 vcc, -1
	s_or_b64 s[54:55], s[54:55], s[58:59]
	s_and_saveexec_b64 s[58:59], s[56:57]
	s_cbranch_execz .LBB12_104
; %bb.108:                              ;   in Loop: Header=BB12_105 Depth=2
	s_sleep 1
	s_trap 2
	ds_read_b64 v[2:3], v0
	s_andn2_b64 s[54:55], s[54:55], exec
	s_waitcnt lgkmcnt(0)
	v_cmp_ge_u64_e32 vcc, v[2:3], v[26:27]
	s_orn2_b64 vcc, vcc, exec
	s_branch .LBB12_104
.LBB12_109:                             ;   in Loop: Header=BB12_49 Depth=1
	s_or_b64 exec, exec, s[50:51]
	s_and_saveexec_b64 vcc, s[52:53]
	s_xor_b64 vcc, exec, vcc
	s_cbranch_execz .LBB12_111
; %bb.110:                              ;   in Loop: Header=BB12_49 Depth=1
	ds_write_b32 v0, v38
	s_trap 2
.LBB12_111:                             ;   in Loop: Header=BB12_49 Depth=1
	s_or_b64 exec, exec, s[48:49]
	;;#ASMSTART
	s_wakeup
	;;#ASMEND
.LBB12_112:                             ;   in Loop: Header=BB12_49 Depth=1
	s_or_b64 exec, exec, s[26:27]
.LBB12_113:                             ;   in Loop: Header=BB12_49 Depth=1
	s_andn2_saveexec_b64 s[24:25], s[24:25]
	s_cbranch_execz .LBB12_115
; %bb.114:                              ;   in Loop: Header=BB12_49 Depth=1
	s_waitcnt vmcnt(0) lgkmcnt(0)
	buffer_wbinvl1_vol
	s_barrier
.LBB12_115:                             ;   in Loop: Header=BB12_49 Depth=1
	s_or_b64 exec, exec, s[24:25]
.LBB12_116:                             ;   in Loop: Header=BB12_49 Depth=1
	s_or_b64 exec, exec, s[22:23]
	s_trap 2
	s_waitcnt lgkmcnt(0)
	ds_read_b64 v[2:3], v0
	s_waitcnt lgkmcnt(0)
	v_readfirstlane_b32 s22, v2
	v_readfirstlane_b32 s23, v3
	s_cmp_eq_u64 s[22:23], 0
	s_cselect_b64 s[22:23], -1, 0
	s_or_b64 s[24:25], s[22:23], s[22:23]
	s_mov_b64 s[22:23], 0
	s_and_b64 vcc, exec, s[24:25]
	s_cbranch_vccnz .LBB12_574
; %bb.117:                              ;   in Loop: Header=BB12_49 Depth=1
	s_mov_b64 s[22:23], -1
	s_and_saveexec_b64 s[24:25], s[16:17]
	s_cbranch_execz .LBB12_119
; %bb.118:                              ;   in Loop: Header=BB12_49 Depth=1
	ds_read_b32 v1, v0 offset:720
	s_waitcnt lgkmcnt(0)
	v_and_b32_e32 v1, 15, v1
	v_cmp_eq_u32_e32 vcc, 0, v1
	s_orn2_b64 s[22:23], vcc, exec
.LBB12_119:                             ;   in Loop: Header=BB12_49 Depth=1
	s_or_b64 exec, exec, s[24:25]
	s_and_saveexec_b64 s[24:25], s[18:19]
	s_cbranch_execz .LBB12_121
; %bb.120:                              ;   in Loop: Header=BB12_49 Depth=1
	ds_read_b32 v1, v0 offset:784
	s_waitcnt lgkmcnt(0)
	v_and_b32_e32 v1, 15, v1
	v_cmp_eq_u32_e32 vcc, 0, v1
	s_and_b64 s[26:27], s[22:23], vcc
	s_andn2_b64 s[22:23], s[22:23], exec
	s_and_b64 s[26:27], s[26:27], exec
	s_or_b64 s[22:23], s[22:23], s[26:27]
.LBB12_121:                             ;   in Loop: Header=BB12_49 Depth=1
	s_or_b64 exec, exec, s[24:25]
	s_xor_b64 s[22:23], s[22:23], -1
	v_cmp_eq_u32_e32 vcc, 0, v0
	v_cndmask_b32_e64 v0, 0, 1, s[22:23]
	;;#ASMSTART
	;;#ASMEND
	s_trap 2
	ds_read_b64 v[2:3], v0
	v_cndmask_b32_e32 v31, 0, v55, vcc
	v_mov_b32_e32 v14, 0
	v_lshlrev_b32_e32 v33, 1, v31
	s_mov_b64 s[22:23], -1
	v_cmp_ne_u32_e32 vcc, 0, v0
	s_cbranch_vccz .LBB12_123
; %bb.122:                              ;   in Loop: Header=BB12_49 Depth=1
	s_waitcnt lgkmcnt(0)
	v_accvgpr_write_b32 a51, v3
	v_accvgpr_write_b32 a50, v2
	v_accvgpr_read_b32 v15, a19
	v_accvgpr_read_b32 v0, a28
	s_and_saveexec_b64 s[26:27], s[22:23]
	s_cbranch_execnz .LBB12_441
	s_branch .LBB12_573
.LBB12_123:                             ;   in Loop: Header=BB12_49 Depth=1
	v_lshrrev_b32_e32 v1, 10, v31
	v_accvgpr_read_b32 v0, a28
	v_sub_u32_e32 v45, v1, v0
	v_accvgpr_read_b32 v0, a30
	v_accvgpr_write_b32 a49, v1
	s_waitcnt lgkmcnt(0)
	v_add_co_u32_e32 v0, vcc, v2, v0
	v_accvgpr_read_b32 v1, a29
	v_accvgpr_write_b32 a22, v26
	v_accvgpr_write_b32 a12, v48
	;; [unrolled: 1-line block ×3, first 2 shown]
	v_addc_co_u32_e32 v1, vcc, v3, v1, vcc
	v_accvgpr_write_b32 a45, v55
	v_accvgpr_write_b32 a23, v27
	;; [unrolled: 1-line block ×6, first 2 shown]
	v_cmp_lt_i32_e32 vcc, 0, v45
	s_mov_b64 s[24:25], 0
                                        ; implicit-def: $vgpr22_vgpr23
                                        ; implicit-def: $vgpr18_vgpr19
                                        ; implicit-def: $vgpr14_vgpr15
                                        ; implicit-def: $vgpr10_vgpr11
	s_and_saveexec_b64 s[22:23], vcc
	s_cbranch_execz .LBB12_259
; %bb.124:                              ;   in Loop: Header=BB12_49 Depth=1
	s_trap 2
	ds_read_b128 v[2:5], v0
	v_accvgpr_read_b32 v6, a30
	v_accvgpr_read_b32 v7, a29
	v_accvgpr_write_b32 a46, v30
	v_accvgpr_write_b32 a48, v33
	s_waitcnt lgkmcnt(0)
	v_add_co_u32_e32 v2, vcc, v2, v6
	v_addc_co_u32_e32 v3, vcc, v3, v7, vcc
	v_add_co_u32_e32 v30, vcc, v4, v6
	v_accvgpr_write_b32 a47, v31
	v_addc_co_u32_e32 v31, vcc, v5, v7, vcc
	s_mov_b64 s[48:49], 0
                                        ; implicit-def: $sgpr26_sgpr27
                                        ; implicit-def: $vgpr12_vgpr13
                                        ; implicit-def: $vgpr16_vgpr17
                                        ; implicit-def: $vgpr20_vgpr21
                                        ; implicit-def: $vgpr24_vgpr25
	s_branch .LBB12_126
.LBB12_125:                             ;   in Loop: Header=BB12_126 Depth=2
	s_or_b64 exec, exec, s[50:51]
	v_lshrrev_b32_e32 v2, 16, v44
	v_and_or_b32 v41, v49, s72, v2
	v_lshrrev_b32_e32 v2, 16, v58
	v_and_or_b32 v40, v48, s72, v2
	;; [unrolled: 2-line block ×5, first 2 shown]
	v_lshrrev_b32_e32 v4, 16, v5
	v_lshrrev_b32_e32 v2, 16, v37
	v_and_or_b32 v4, v28, s72, v4
	v_lshrrev_b32_e32 v5, 16, v6
	v_and_or_b32 v2, v32, s72, v2
	v_and_or_b32 v5, v7, s72, v5
	global_store_dwordx4 v[0:1], v[40:43], off glc slc
	global_store_dwordx4 v[0:1], v[2:5], off offset:1024 glc slc
	v_mov_b32_e32 v43, v9
	v_accvgpr_read_b32 v4, a32
	v_add_co_u32_e32 v2, vcc, v52, v4
	v_accvgpr_read_b32 v5, a31
	v_addc_co_u32_e32 v3, vcc, v53, v5, vcc
	v_add_co_u32_e32 v4, vcc, v30, v4
	v_mov_b32_e32 v7, 0x800
	v_addc_co_u32_e32 v5, vcc, v31, v5, vcc
	v_accvgpr_read_b32 v6, a33
	v_cndmask_b32_e64 v7, v7, v43, s[48:49]
	v_mov_b32_e32 v42, v8
	v_cndmask_b32_e64 v6, 0, v6, s[48:49]
	v_add_co_u32_e32 v0, vcc, v0, v7
	v_cndmask_b32_e64 v30, v30, v4, s[48:49]
	v_cndmask_b32_e64 v4, 0, v42, s[48:49]
	v_addc_co_u32_e32 v1, vcc, v1, v6, vcc
	v_sub_u32_e32 v45, v45, v4
	v_cmp_gt_i32_e32 vcc, 1, v45
	s_or_b64 s[24:25], vcc, s[24:25]
	s_andn2_b64 s[26:27], s[26:27], exec
	s_and_b64 vcc, s[48:49], exec
	v_cndmask_b32_e64 v3, v53, v3, s[48:49]
	v_cndmask_b32_e64 v2, v52, v2, s[48:49]
	;; [unrolled: 1-line block ×3, first 2 shown]
	s_or_b64 s[26:27], s[26:27], vcc
	s_andn2_b64 exec, exec, s[24:25]
	s_cbranch_execz .LBB12_258
.LBB12_126:                             ;   Parent Loop BB12_49 Depth=1
                                        ; =>  This Inner Loop Header: Depth=2
	global_load_dwordx4 v[48:51], v[2:3], off glc slc
	global_load_dwordx4 v[32:35], v[2:3], off offset:1024 glc slc
	global_load_dwordx4 v[36:39], v[30:31], off glc slc
	global_load_dwordx4 v[26:29], v[30:31], off offset:1024 glc slc
	s_and_saveexec_b64 s[50:51], s[48:49]
	s_cbranch_execz .LBB12_192
; %bb.127:                              ;   in Loop: Header=BB12_126 Depth=2
	v_lshlrev_b32_e32 v4, 16, v22
	v_lshlrev_b32_e32 v6, 16, v18
	v_pk_add_f32 v[52:53], v[4:5], v[6:7] op_sel_hi:[0,1]
	v_and_b32_e32 v4, 0x7f800000, v52
	v_cmp_ne_u32_e32 vcc, s70, v4
                                        ; implicit-def: $vgpr58
	s_and_saveexec_b64 s[48:49], vcc
	s_xor_b64 vcc, exec, s[48:49]
; %bb.128:                              ;   in Loop: Header=BB12_126 Depth=2
	v_bfe_u32 v4, v52, 16, 1
	v_add3_u32 v58, v52, v4, s71
                                        ; implicit-def: $vgpr52_vgpr53
; %bb.129:                              ;   in Loop: Header=BB12_126 Depth=2
	s_andn2_saveexec_b64 s[48:49], vcc
; %bb.130:                              ;   in Loop: Header=BB12_126 Depth=2
	v_or_b32_e32 v4, 0x10000, v52
	v_cmp_eq_u32_sdwa vcc, v52, v60 src0_sel:WORD_0 src1_sel:DWORD
	v_cndmask_b32_e32 v58, v4, v52, vcc
; %bb.131:                              ;   in Loop: Header=BB12_126 Depth=2
	s_or_b64 exec, exec, s[48:49]
	v_mov_b32_e32 v4, v18
	v_mov_b32_e32 v5, v22
	v_and_b32_e32 v6, 0xffff0000, v5
	v_and_b32_e32 v4, 0xffff0000, v4
	v_pk_add_f32 v[52:53], v[6:7], v[4:5] op_sel_hi:[0,1]
	v_and_b32_e32 v4, 0x7f800000, v52
	v_cmp_ne_u32_e32 vcc, s70, v4
                                        ; implicit-def: $vgpr59
	s_and_saveexec_b64 s[48:49], vcc
	s_xor_b64 vcc, exec, s[48:49]
; %bb.132:                              ;   in Loop: Header=BB12_126 Depth=2
	v_bfe_u32 v4, v52, 16, 1
	v_add3_u32 v59, v52, v4, s71
                                        ; implicit-def: $vgpr52_vgpr53
; %bb.133:                              ;   in Loop: Header=BB12_126 Depth=2
	s_andn2_saveexec_b64 s[48:49], vcc
; %bb.134:                              ;   in Loop: Header=BB12_126 Depth=2
	v_or_b32_e32 v4, 0x10000, v52
	v_cmp_eq_u32_sdwa vcc, v52, v60 src0_sel:WORD_0 src1_sel:DWORD
	v_cndmask_b32_e32 v59, v4, v52, vcc
; %bb.135:                              ;   in Loop: Header=BB12_126 Depth=2
	s_or_b64 exec, exec, s[48:49]
	v_lshlrev_b32_e32 v4, 16, v23
	v_lshlrev_b32_e32 v6, 16, v19
	v_pk_add_f32 v[52:53], v[4:5], v[6:7] op_sel_hi:[0,1]
	v_and_b32_e32 v4, 0x7f800000, v52
	v_cmp_ne_u32_e32 vcc, s70, v4
                                        ; implicit-def: $vgpr44
	s_and_saveexec_b64 s[48:49], vcc
	s_xor_b64 vcc, exec, s[48:49]
; %bb.136:                              ;   in Loop: Header=BB12_126 Depth=2
	v_bfe_u32 v4, v52, 16, 1
	v_add3_u32 v44, v52, v4, s71
                                        ; implicit-def: $vgpr52_vgpr53
; %bb.137:                              ;   in Loop: Header=BB12_126 Depth=2
	s_andn2_saveexec_b64 s[48:49], vcc
; %bb.138:                              ;   in Loop: Header=BB12_126 Depth=2
	v_or_b32_e32 v4, 0x10000, v52
	v_cmp_eq_u32_sdwa vcc, v52, v60 src0_sel:WORD_0 src1_sel:DWORD
	v_cndmask_b32_e32 v44, v4, v52, vcc
; %bb.139:                              ;   in Loop: Header=BB12_126 Depth=2
	s_or_b64 exec, exec, s[48:49]
	v_mov_b32_e32 v4, v19
	v_and_b32_e32 v6, 0xffff0000, v23
	v_and_b32_e32 v4, 0xffff0000, v4
	v_pk_add_f32 v[22:23], v[6:7], v[4:5] op_sel_hi:[0,1]
	v_and_b32_e32 v4, 0x7f800000, v22
	v_cmp_ne_u32_e32 vcc, s70, v4
                                        ; implicit-def: $vgpr52
	s_and_saveexec_b64 s[48:49], vcc
	s_xor_b64 vcc, exec, s[48:49]
; %bb.140:                              ;   in Loop: Header=BB12_126 Depth=2
	v_bfe_u32 v4, v22, 16, 1
	v_add3_u32 v52, v22, v4, s71
                                        ; implicit-def: $vgpr22_vgpr23
; %bb.141:                              ;   in Loop: Header=BB12_126 Depth=2
	s_andn2_saveexec_b64 s[48:49], vcc
; %bb.142:                              ;   in Loop: Header=BB12_126 Depth=2
	v_or_b32_e32 v4, 0x10000, v22
	v_cmp_eq_u32_sdwa vcc, v22, v60 src0_sel:WORD_0 src1_sel:DWORD
	v_cndmask_b32_e32 v52, v4, v22, vcc
; %bb.143:                              ;   in Loop: Header=BB12_126 Depth=2
	s_or_b64 exec, exec, s[48:49]
	v_lshlrev_b32_e32 v4, 16, v24
	v_lshlrev_b32_e32 v6, 16, v20
	v_pk_add_f32 v[22:23], v[4:5], v[6:7] op_sel_hi:[0,1]
	v_and_b32_e32 v4, 0x7f800000, v22
	v_cmp_ne_u32_e32 vcc, s70, v4
                                        ; implicit-def: $vgpr53
	s_and_saveexec_b64 s[48:49], vcc
	s_xor_b64 vcc, exec, s[48:49]
; %bb.144:                              ;   in Loop: Header=BB12_126 Depth=2
	v_bfe_u32 v4, v22, 16, 1
	v_add3_u32 v53, v22, v4, s71
                                        ; implicit-def: $vgpr22_vgpr23
; %bb.145:                              ;   in Loop: Header=BB12_126 Depth=2
	s_andn2_saveexec_b64 s[48:49], vcc
; %bb.146:                              ;   in Loop: Header=BB12_126 Depth=2
	v_or_b32_e32 v4, 0x10000, v22
	v_cmp_eq_u32_sdwa vcc, v22, v60 src0_sel:WORD_0 src1_sel:DWORD
	v_cndmask_b32_e32 v53, v4, v22, vcc
; %bb.147:                              ;   in Loop: Header=BB12_126 Depth=2
	s_or_b64 exec, exec, s[48:49]
	v_mov_b32_e32 v4, v20
	v_mov_b32_e32 v5, v24
	v_and_b32_e32 v6, 0xffff0000, v5
	v_and_b32_e32 v4, 0xffff0000, v4
	v_pk_add_f32 v[22:23], v[6:7], v[4:5] op_sel_hi:[0,1]
	v_and_b32_e32 v4, 0x7f800000, v22
	v_cmp_ne_u32_e32 vcc, s70, v4
                                        ; implicit-def: $vgpr24
	s_and_saveexec_b64 s[48:49], vcc
	s_xor_b64 vcc, exec, s[48:49]
; %bb.148:                              ;   in Loop: Header=BB12_126 Depth=2
	v_bfe_u32 v4, v22, 16, 1
	v_add3_u32 v24, v22, v4, s71
                                        ; implicit-def: $vgpr22_vgpr23
; %bb.149:                              ;   in Loop: Header=BB12_126 Depth=2
	s_andn2_saveexec_b64 s[48:49], vcc
; %bb.150:                              ;   in Loop: Header=BB12_126 Depth=2
	v_or_b32_e32 v4, 0x10000, v22
	v_cmp_eq_u32_sdwa vcc, v22, v60 src0_sel:WORD_0 src1_sel:DWORD
	v_cndmask_b32_e32 v24, v4, v22, vcc
; %bb.151:                              ;   in Loop: Header=BB12_126 Depth=2
	s_or_b64 exec, exec, s[48:49]
	v_lshlrev_b32_e32 v4, 16, v25
	v_lshlrev_b32_e32 v6, 16, v21
	v_pk_add_f32 v[22:23], v[4:5], v[6:7] op_sel_hi:[0,1]
	v_and_b32_e32 v4, 0x7f800000, v22
	v_cmp_ne_u32_e32 vcc, s70, v4
                                        ; implicit-def: $vgpr61
	s_and_saveexec_b64 s[48:49], vcc
	s_xor_b64 vcc, exec, s[48:49]
; %bb.152:                              ;   in Loop: Header=BB12_126 Depth=2
	v_bfe_u32 v4, v22, 16, 1
	v_add3_u32 v61, v22, v4, s71
                                        ; implicit-def: $vgpr22_vgpr23
; %bb.153:                              ;   in Loop: Header=BB12_126 Depth=2
	s_andn2_saveexec_b64 s[48:49], vcc
; %bb.154:                              ;   in Loop: Header=BB12_126 Depth=2
	v_or_b32_e32 v4, 0x10000, v22
	v_cmp_eq_u32_sdwa vcc, v22, v60 src0_sel:WORD_0 src1_sel:DWORD
	v_cndmask_b32_e32 v61, v4, v22, vcc
; %bb.155:                              ;   in Loop: Header=BB12_126 Depth=2
	s_or_b64 exec, exec, s[48:49]
	v_mov_b32_e32 v4, v21
	v_and_b32_e32 v6, 0xffff0000, v25
	v_and_b32_e32 v4, 0xffff0000, v4
	v_pk_add_f32 v[22:23], v[6:7], v[4:5] op_sel_hi:[0,1]
	v_and_b32_e32 v4, 0x7f800000, v22
	v_cmp_ne_u32_e32 vcc, s70, v4
                                        ; implicit-def: $vgpr25
	s_and_saveexec_b64 s[48:49], vcc
	s_xor_b64 vcc, exec, s[48:49]
; %bb.156:                              ;   in Loop: Header=BB12_126 Depth=2
	v_bfe_u32 v4, v22, 16, 1
	v_add3_u32 v25, v22, v4, s71
                                        ; implicit-def: $vgpr22_vgpr23
; %bb.157:                              ;   in Loop: Header=BB12_126 Depth=2
	s_andn2_saveexec_b64 s[48:49], vcc
; %bb.158:                              ;   in Loop: Header=BB12_126 Depth=2
	v_or_b32_e32 v4, 0x10000, v22
	v_cmp_eq_u32_sdwa vcc, v22, v60 src0_sel:WORD_0 src1_sel:DWORD
	v_cndmask_b32_e32 v25, v4, v22, vcc
; %bb.159:                              ;   in Loop: Header=BB12_126 Depth=2
	s_or_b64 exec, exec, s[48:49]
	v_lshlrev_b32_e32 v4, 16, v14
	v_lshlrev_b32_e32 v6, 16, v10
	v_pk_add_f32 v[22:23], v[4:5], v[6:7] op_sel_hi:[0,1]
	v_and_b32_e32 v4, 0x7f800000, v22
	v_cmp_ne_u32_e32 vcc, s70, v4
                                        ; implicit-def: $vgpr55
	s_and_saveexec_b64 s[48:49], vcc
	s_xor_b64 vcc, exec, s[48:49]
; %bb.160:                              ;   in Loop: Header=BB12_126 Depth=2
	v_bfe_u32 v4, v22, 16, 1
	v_add3_u32 v55, v22, v4, s71
                                        ; implicit-def: $vgpr22_vgpr23
; %bb.161:                              ;   in Loop: Header=BB12_126 Depth=2
	s_andn2_saveexec_b64 s[48:49], vcc
; %bb.162:                              ;   in Loop: Header=BB12_126 Depth=2
	v_or_b32_e32 v4, 0x10000, v22
	v_cmp_eq_u32_sdwa vcc, v22, v60 src0_sel:WORD_0 src1_sel:DWORD
	v_cndmask_b32_e32 v55, v4, v22, vcc
; %bb.163:                              ;   in Loop: Header=BB12_126 Depth=2
	s_or_b64 exec, exec, s[48:49]
	v_mov_b32_e32 v4, v10
	v_mov_b32_e32 v5, v14
	v_and_b32_e32 v6, 0xffff0000, v5
	v_and_b32_e32 v4, 0xffff0000, v4
	v_pk_add_f32 v[22:23], v[6:7], v[4:5] op_sel_hi:[0,1]
	v_and_b32_e32 v4, 0x7f800000, v22
	v_cmp_ne_u32_e32 vcc, s70, v4
                                        ; implicit-def: $vgpr41
	s_and_saveexec_b64 s[48:49], vcc
	s_xor_b64 vcc, exec, s[48:49]
; %bb.164:                              ;   in Loop: Header=BB12_126 Depth=2
	v_bfe_u32 v4, v22, 16, 1
	v_add3_u32 v41, v22, v4, s71
                                        ; implicit-def: $vgpr22_vgpr23
; %bb.165:                              ;   in Loop: Header=BB12_126 Depth=2
	s_andn2_saveexec_b64 s[48:49], vcc
; %bb.166:                              ;   in Loop: Header=BB12_126 Depth=2
	v_or_b32_e32 v4, 0x10000, v22
	v_cmp_eq_u32_sdwa vcc, v22, v60 src0_sel:WORD_0 src1_sel:DWORD
	v_cndmask_b32_e32 v41, v4, v22, vcc
; %bb.167:                              ;   in Loop: Header=BB12_126 Depth=2
	s_or_b64 exec, exec, s[48:49]
	v_lshlrev_b32_e32 v4, 16, v15
	v_lshlrev_b32_e32 v6, 16, v11
	v_pk_add_f32 v[22:23], v[4:5], v[6:7] op_sel_hi:[0,1]
	v_and_b32_e32 v4, 0x7f800000, v22
	v_cmp_ne_u32_e32 vcc, s70, v4
                                        ; implicit-def: $vgpr40
	s_and_saveexec_b64 s[48:49], vcc
	s_xor_b64 vcc, exec, s[48:49]
; %bb.168:                              ;   in Loop: Header=BB12_126 Depth=2
	v_bfe_u32 v4, v22, 16, 1
	v_add3_u32 v40, v22, v4, s71
                                        ; implicit-def: $vgpr22_vgpr23
; %bb.169:                              ;   in Loop: Header=BB12_126 Depth=2
	s_andn2_saveexec_b64 s[48:49], vcc
; %bb.170:                              ;   in Loop: Header=BB12_126 Depth=2
	v_or_b32_e32 v4, 0x10000, v22
	v_cmp_eq_u32_sdwa vcc, v22, v60 src0_sel:WORD_0 src1_sel:DWORD
	v_cndmask_b32_e32 v40, v4, v22, vcc
; %bb.171:                              ;   in Loop: Header=BB12_126 Depth=2
	s_or_b64 exec, exec, s[48:49]
	v_mov_b32_e32 v4, v11
	v_and_b32_e32 v6, 0xffff0000, v15
	v_and_b32_e32 v4, 0xffff0000, v4
	v_pk_add_f32 v[14:15], v[6:7], v[4:5] op_sel_hi:[0,1]
	v_and_b32_e32 v4, 0x7f800000, v14
	v_cmp_ne_u32_e32 vcc, s70, v4
                                        ; implicit-def: $vgpr4
	s_and_saveexec_b64 s[48:49], vcc
	s_xor_b64 vcc, exec, s[48:49]
; %bb.172:                              ;   in Loop: Header=BB12_126 Depth=2
	v_bfe_u32 v4, v14, 16, 1
	v_add3_u32 v4, v14, v4, s71
                                        ; implicit-def: $vgpr14_vgpr15
; %bb.173:                              ;   in Loop: Header=BB12_126 Depth=2
	s_andn2_saveexec_b64 s[48:49], vcc
; %bb.174:                              ;   in Loop: Header=BB12_126 Depth=2
	v_or_b32_e32 v4, 0x10000, v14
	v_cmp_eq_u32_sdwa vcc, v14, v60 src0_sel:WORD_0 src1_sel:DWORD
	v_cndmask_b32_e32 v4, v4, v14, vcc
; %bb.175:                              ;   in Loop: Header=BB12_126 Depth=2
	s_or_b64 exec, exec, s[48:49]
	v_lshlrev_b32_e32 v6, 16, v16
	v_lshlrev_b32_e32 v8, 16, v12
	v_pk_add_f32 v[14:15], v[6:7], v[8:9] op_sel_hi:[0,1]
	v_and_b32_e32 v5, 0x7f800000, v14
	v_cmp_ne_u32_e32 vcc, s70, v5
                                        ; implicit-def: $vgpr5
	s_and_saveexec_b64 s[48:49], vcc
	s_xor_b64 vcc, exec, s[48:49]
; %bb.176:                              ;   in Loop: Header=BB12_126 Depth=2
	v_bfe_u32 v5, v14, 16, 1
	v_add3_u32 v5, v14, v5, s71
                                        ; implicit-def: $vgpr14_vgpr15
; %bb.177:                              ;   in Loop: Header=BB12_126 Depth=2
	s_andn2_saveexec_b64 s[48:49], vcc
; %bb.178:                              ;   in Loop: Header=BB12_126 Depth=2
	v_or_b32_e32 v5, 0x10000, v14
	v_cmp_eq_u32_sdwa vcc, v14, v60 src0_sel:WORD_0 src1_sel:DWORD
	v_cndmask_b32_e32 v5, v5, v14, vcc
; %bb.179:                              ;   in Loop: Header=BB12_126 Depth=2
	s_or_b64 exec, exec, s[48:49]
	v_mov_b32_e32 v6, v12
	v_mov_b32_e32 v7, v16
	v_and_b32_e32 v8, 0xffff0000, v7
	v_and_b32_e32 v6, 0xffff0000, v6
	v_pk_add_f32 v[14:15], v[8:9], v[6:7] op_sel_hi:[0,1]
	v_and_b32_e32 v6, 0x7f800000, v14
	v_cmp_ne_u32_e32 vcc, s70, v6
                                        ; implicit-def: $vgpr16
	s_and_saveexec_b64 s[48:49], vcc
	s_xor_b64 vcc, exec, s[48:49]
; %bb.180:                              ;   in Loop: Header=BB12_126 Depth=2
	v_bfe_u32 v6, v14, 16, 1
	v_add3_u32 v16, v14, v6, s71
                                        ; implicit-def: $vgpr14_vgpr15
; %bb.181:                              ;   in Loop: Header=BB12_126 Depth=2
	s_andn2_saveexec_b64 s[48:49], vcc
; %bb.182:                              ;   in Loop: Header=BB12_126 Depth=2
	v_or_b32_e32 v6, 0x10000, v14
	v_cmp_eq_u32_sdwa vcc, v14, v60 src0_sel:WORD_0 src1_sel:DWORD
	v_cndmask_b32_e32 v16, v6, v14, vcc
; %bb.183:                              ;   in Loop: Header=BB12_126 Depth=2
	s_or_b64 exec, exec, s[48:49]
	v_lshlrev_b32_e32 v6, 16, v17
	v_lshlrev_b32_e32 v8, 16, v13
	v_pk_add_f32 v[14:15], v[6:7], v[8:9] op_sel_hi:[0,1]
	v_and_b32_e32 v6, 0x7f800000, v14
	v_cmp_ne_u32_e32 vcc, s70, v6
                                        ; implicit-def: $vgpr6
	s_and_saveexec_b64 s[48:49], vcc
	s_xor_b64 vcc, exec, s[48:49]
; %bb.184:                              ;   in Loop: Header=BB12_126 Depth=2
	v_bfe_u32 v6, v14, 16, 1
	v_add3_u32 v6, v14, v6, s71
                                        ; implicit-def: $vgpr14_vgpr15
; %bb.185:                              ;   in Loop: Header=BB12_126 Depth=2
	s_andn2_saveexec_b64 s[48:49], vcc
; %bb.186:                              ;   in Loop: Header=BB12_126 Depth=2
	v_or_b32_e32 v6, 0x10000, v14
	v_cmp_eq_u32_sdwa vcc, v14, v60 src0_sel:WORD_0 src1_sel:DWORD
	v_cndmask_b32_e32 v6, v6, v14, vcc
; %bb.187:                              ;   in Loop: Header=BB12_126 Depth=2
	s_or_b64 exec, exec, s[48:49]
	v_mov_b32_e32 v8, v13
	v_and_b32_e32 v14, 0xffff0000, v17
	v_and_b32_e32 v8, 0xffff0000, v8
	v_pk_add_f32 v[14:15], v[14:15], v[8:9] op_sel_hi:[0,1]
	v_and_b32_e32 v7, 0x7f800000, v14
	v_cmp_ne_u32_e32 vcc, s70, v7
                                        ; implicit-def: $vgpr7
	s_and_saveexec_b64 s[48:49], vcc
	s_xor_b64 vcc, exec, s[48:49]
; %bb.188:                              ;   in Loop: Header=BB12_126 Depth=2
	v_bfe_u32 v7, v14, 16, 1
	v_add3_u32 v7, v14, v7, s71
                                        ; implicit-def: $vgpr14_vgpr15
; %bb.189:                              ;   in Loop: Header=BB12_126 Depth=2
	s_andn2_saveexec_b64 s[48:49], vcc
; %bb.190:                              ;   in Loop: Header=BB12_126 Depth=2
	v_or_b32_e32 v7, 0x10000, v14
	v_cmp_eq_u32_sdwa vcc, v14, v60 src0_sel:WORD_0 src1_sel:DWORD
	v_cndmask_b32_e32 v7, v7, v14, vcc
; %bb.191:                              ;   in Loop: Header=BB12_126 Depth=2
	s_or_b64 exec, exec, s[48:49]
	v_lshrrev_b32_e32 v8, 16, v44
	v_and_or_b32 v23, v52, s72, v8
	v_lshrrev_b32_e32 v8, 16, v58
	v_and_or_b32 v22, v59, s72, v8
	;; [unrolled: 2-line block ×8, first 2 shown]
	global_store_dwordx4 v[0:1], v[22:25], off glc slc
	global_store_dwordx4 v[0:1], v[14:17], off offset:1024 glc slc
	v_add_co_u32_e32 v0, vcc, v0, v43
	v_accvgpr_read_b32 v4, a33
	v_addc_co_u32_e32 v1, vcc, v1, v4, vcc
.LBB12_192:                             ;   in Loop: Header=BB12_126 Depth=2
	s_or_b64 exec, exec, s[50:51]
	v_add_co_u32_e32 v52, vcc, v2, v43
	v_accvgpr_read_b32 v2, a33
	v_addc_co_u32_e32 v53, vcc, v3, v2, vcc
	v_add_co_u32_e32 v30, vcc, v30, v43
	v_sub_u32_e32 v45, v45, v42
	v_addc_co_u32_e32 v31, vcc, v31, v2, vcc
	v_cmp_lt_i32_e64 s[48:49], 0, v45
	s_and_saveexec_b64 s[50:51], s[48:49]
	s_cbranch_execz .LBB12_194
; %bb.193:                              ;   in Loop: Header=BB12_126 Depth=2
	global_load_dwordx4 v[22:25], v[52:53], off glc slc
	global_load_dwordx4 v[14:17], v[52:53], off offset:1024 glc slc
	global_load_dwordx4 v[18:21], v[30:31], off glc slc
	global_load_dwordx4 v[10:13], v[30:31], off offset:1024 glc slc
	v_add_co_u32_e32 v52, vcc, s66, v52
	v_addc_co_u32_e32 v53, vcc, 0, v53, vcc
	v_add_co_u32_e32 v30, vcc, 0x800, v30
	v_addc_co_u32_e32 v31, vcc, 0, v31, vcc
.LBB12_194:                             ;   in Loop: Header=BB12_126 Depth=2
	s_or_b64 exec, exec, s[50:51]
	s_waitcnt vmcnt(0)
	v_lshlrev_b32_e32 v2, 16, v36
	v_lshlrev_b32_e32 v4, 16, v48
	v_pk_add_f32 v[2:3], v[2:3], v[4:5] op_sel_hi:[0,1]
	v_and_b32_e32 v3, 0x7f800000, v2
	v_cmp_ne_u32_e32 vcc, s70, v3
                                        ; implicit-def: $vgpr58
	s_and_saveexec_b64 s[50:51], vcc
	s_xor_b64 vcc, exec, s[50:51]
; %bb.195:                              ;   in Loop: Header=BB12_126 Depth=2
	v_bfe_u32 v3, v2, 16, 1
	v_add3_u32 v58, v2, v3, s71
                                        ; implicit-def: $vgpr2_vgpr3
; %bb.196:                              ;   in Loop: Header=BB12_126 Depth=2
	s_andn2_saveexec_b64 s[50:51], vcc
; %bb.197:                              ;   in Loop: Header=BB12_126 Depth=2
	v_or_b32_e32 v3, 0x10000, v2
	v_cmp_eq_u32_sdwa vcc, v2, v60 src0_sel:WORD_0 src1_sel:DWORD
	v_cndmask_b32_e32 v58, v3, v2, vcc
; %bb.198:                              ;   in Loop: Header=BB12_126 Depth=2
	s_or_b64 exec, exec, s[50:51]
	v_and_b32_e32 v2, 0xffff0000, v36
	v_and_b32_e32 v4, 0xffff0000, v48
	v_pk_add_f32 v[2:3], v[2:3], v[4:5] op_sel_hi:[0,1]
	v_and_b32_e32 v3, 0x7f800000, v2
	v_cmp_ne_u32_e32 vcc, s70, v3
                                        ; implicit-def: $vgpr48
	s_and_saveexec_b64 s[50:51], vcc
	s_xor_b64 vcc, exec, s[50:51]
; %bb.199:                              ;   in Loop: Header=BB12_126 Depth=2
	v_bfe_u32 v3, v2, 16, 1
	v_add3_u32 v48, v2, v3, s71
                                        ; implicit-def: $vgpr2_vgpr3
; %bb.200:                              ;   in Loop: Header=BB12_126 Depth=2
	s_andn2_saveexec_b64 s[50:51], vcc
; %bb.201:                              ;   in Loop: Header=BB12_126 Depth=2
	v_or_b32_e32 v3, 0x10000, v2
	v_cmp_eq_u32_sdwa vcc, v2, v60 src0_sel:WORD_0 src1_sel:DWORD
	v_cndmask_b32_e32 v48, v3, v2, vcc
; %bb.202:                              ;   in Loop: Header=BB12_126 Depth=2
	s_or_b64 exec, exec, s[50:51]
	v_mov_b32_e32 v3, v37
	v_lshlrev_b32_e32 v2, 16, v3
	v_lshlrev_b32_e32 v4, 16, v49
	v_pk_add_f32 v[36:37], v[2:3], v[4:5] op_sel_hi:[0,1]
	v_and_b32_e32 v2, 0x7f800000, v36
	v_cmp_ne_u32_e32 vcc, s70, v2
                                        ; implicit-def: $vgpr44
	s_and_saveexec_b64 s[50:51], vcc
	s_xor_b64 vcc, exec, s[50:51]
; %bb.203:                              ;   in Loop: Header=BB12_126 Depth=2
	v_bfe_u32 v2, v36, 16, 1
	v_add3_u32 v44, v36, v2, s71
                                        ; implicit-def: $vgpr36_vgpr37
; %bb.204:                              ;   in Loop: Header=BB12_126 Depth=2
	s_andn2_saveexec_b64 s[50:51], vcc
; %bb.205:                              ;   in Loop: Header=BB12_126 Depth=2
	v_or_b32_e32 v2, 0x10000, v36
	v_cmp_eq_u32_sdwa vcc, v36, v60 src0_sel:WORD_0 src1_sel:DWORD
	v_cndmask_b32_e32 v44, v2, v36, vcc
; %bb.206:                              ;   in Loop: Header=BB12_126 Depth=2
	s_or_b64 exec, exec, s[50:51]
	v_and_b32_e32 v2, 0xffff0000, v3
	v_and_b32_e32 v4, 0xffff0000, v49
	v_pk_add_f32 v[2:3], v[2:3], v[4:5] op_sel_hi:[0,1]
	v_and_b32_e32 v3, 0x7f800000, v2
	v_cmp_ne_u32_e32 vcc, s70, v3
                                        ; implicit-def: $vgpr49
	s_and_saveexec_b64 s[50:51], vcc
	s_xor_b64 vcc, exec, s[50:51]
; %bb.207:                              ;   in Loop: Header=BB12_126 Depth=2
	v_bfe_u32 v3, v2, 16, 1
	v_add3_u32 v49, v2, v3, s71
                                        ; implicit-def: $vgpr2_vgpr3
; %bb.208:                              ;   in Loop: Header=BB12_126 Depth=2
	s_andn2_saveexec_b64 s[50:51], vcc
; %bb.209:                              ;   in Loop: Header=BB12_126 Depth=2
	v_or_b32_e32 v3, 0x10000, v2
	v_cmp_eq_u32_sdwa vcc, v2, v60 src0_sel:WORD_0 src1_sel:DWORD
	v_cndmask_b32_e32 v49, v3, v2, vcc
; %bb.210:                              ;   in Loop: Header=BB12_126 Depth=2
	s_or_b64 exec, exec, s[50:51]
	v_lshlrev_b32_e32 v2, 16, v38
	v_lshlrev_b32_e32 v4, 16, v50
	v_pk_add_f32 v[2:3], v[2:3], v[4:5] op_sel_hi:[0,1]
	v_and_b32_e32 v3, 0x7f800000, v2
	v_cmp_ne_u32_e32 vcc, s70, v3
                                        ; implicit-def: $vgpr59
	s_and_saveexec_b64 s[50:51], vcc
	s_xor_b64 vcc, exec, s[50:51]
; %bb.211:                              ;   in Loop: Header=BB12_126 Depth=2
	v_bfe_u32 v3, v2, 16, 1
	v_add3_u32 v59, v2, v3, s71
                                        ; implicit-def: $vgpr2_vgpr3
; %bb.212:                              ;   in Loop: Header=BB12_126 Depth=2
	s_andn2_saveexec_b64 s[50:51], vcc
; %bb.213:                              ;   in Loop: Header=BB12_126 Depth=2
	v_or_b32_e32 v3, 0x10000, v2
	v_cmp_eq_u32_sdwa vcc, v2, v60 src0_sel:WORD_0 src1_sel:DWORD
	v_cndmask_b32_e32 v59, v3, v2, vcc
; %bb.214:                              ;   in Loop: Header=BB12_126 Depth=2
	s_or_b64 exec, exec, s[50:51]
	v_and_b32_e32 v2, 0xffff0000, v38
	v_and_b32_e32 v4, 0xffff0000, v50
	v_pk_add_f32 v[2:3], v[2:3], v[4:5] op_sel_hi:[0,1]
	v_and_b32_e32 v3, 0x7f800000, v2
	v_cmp_ne_u32_e32 vcc, s70, v3
                                        ; implicit-def: $vgpr38
	s_and_saveexec_b64 s[50:51], vcc
	s_xor_b64 vcc, exec, s[50:51]
; %bb.215:                              ;   in Loop: Header=BB12_126 Depth=2
	v_bfe_u32 v3, v2, 16, 1
	v_add3_u32 v38, v2, v3, s71
                                        ; implicit-def: $vgpr2_vgpr3
; %bb.216:                              ;   in Loop: Header=BB12_126 Depth=2
	s_andn2_saveexec_b64 s[50:51], vcc
; %bb.217:                              ;   in Loop: Header=BB12_126 Depth=2
	v_or_b32_e32 v3, 0x10000, v2
	v_cmp_eq_u32_sdwa vcc, v2, v60 src0_sel:WORD_0 src1_sel:DWORD
	v_cndmask_b32_e32 v38, v3, v2, vcc
; %bb.218:                              ;   in Loop: Header=BB12_126 Depth=2
	s_or_b64 exec, exec, s[50:51]
	v_mov_b32_e32 v3, v51
	v_lshlrev_b32_e32 v2, 16, v39
	v_lshlrev_b32_e32 v4, 16, v3
	v_pk_add_f32 v[36:37], v[2:3], v[4:5] op_sel_hi:[0,1]
	v_and_b32_e32 v2, 0x7f800000, v36
	v_cmp_ne_u32_e32 vcc, s70, v2
                                        ; implicit-def: $vgpr50
	s_and_saveexec_b64 s[50:51], vcc
	s_xor_b64 vcc, exec, s[50:51]
; %bb.219:                              ;   in Loop: Header=BB12_126 Depth=2
	v_bfe_u32 v2, v36, 16, 1
	v_add3_u32 v50, v36, v2, s71
                                        ; implicit-def: $vgpr36_vgpr37
; %bb.220:                              ;   in Loop: Header=BB12_126 Depth=2
	s_andn2_saveexec_b64 s[50:51], vcc
; %bb.221:                              ;   in Loop: Header=BB12_126 Depth=2
	v_or_b32_e32 v2, 0x10000, v36
	v_cmp_eq_u32_sdwa vcc, v36, v60 src0_sel:WORD_0 src1_sel:DWORD
	v_cndmask_b32_e32 v50, v2, v36, vcc
; %bb.222:                              ;   in Loop: Header=BB12_126 Depth=2
	s_or_b64 exec, exec, s[50:51]
	v_and_b32_e32 v2, 0xffff0000, v39
	v_and_b32_e32 v4, 0xffff0000, v3
	v_pk_add_f32 v[2:3], v[2:3], v[4:5] op_sel_hi:[0,1]
	v_and_b32_e32 v3, 0x7f800000, v2
	v_cmp_ne_u32_e32 vcc, s70, v3
                                        ; implicit-def: $vgpr36
	s_and_saveexec_b64 s[50:51], vcc
	s_xor_b64 vcc, exec, s[50:51]
; %bb.223:                              ;   in Loop: Header=BB12_126 Depth=2
	v_bfe_u32 v3, v2, 16, 1
	v_add3_u32 v36, v2, v3, s71
                                        ; implicit-def: $vgpr2_vgpr3
; %bb.224:                              ;   in Loop: Header=BB12_126 Depth=2
	s_andn2_saveexec_b64 s[50:51], vcc
; %bb.225:                              ;   in Loop: Header=BB12_126 Depth=2
	v_or_b32_e32 v3, 0x10000, v2
	v_cmp_eq_u32_sdwa vcc, v2, v60 src0_sel:WORD_0 src1_sel:DWORD
	v_cndmask_b32_e32 v36, v3, v2, vcc
; %bb.226:                              ;   in Loop: Header=BB12_126 Depth=2
	s_or_b64 exec, exec, s[50:51]
	v_lshlrev_b32_e32 v2, 16, v26
	v_lshlrev_b32_e32 v4, 16, v32
	v_pk_add_f32 v[2:3], v[2:3], v[4:5] op_sel_hi:[0,1]
	v_and_b32_e32 v3, 0x7f800000, v2
	v_cmp_ne_u32_e32 vcc, s70, v3
                                        ; implicit-def: $vgpr37
	s_and_saveexec_b64 s[50:51], vcc
	s_xor_b64 vcc, exec, s[50:51]
; %bb.227:                              ;   in Loop: Header=BB12_126 Depth=2
	v_bfe_u32 v3, v2, 16, 1
	v_add3_u32 v37, v2, v3, s71
                                        ; implicit-def: $vgpr2_vgpr3
; %bb.228:                              ;   in Loop: Header=BB12_126 Depth=2
	s_andn2_saveexec_b64 s[50:51], vcc
; %bb.229:                              ;   in Loop: Header=BB12_126 Depth=2
	v_or_b32_e32 v3, 0x10000, v2
	v_cmp_eq_u32_sdwa vcc, v2, v60 src0_sel:WORD_0 src1_sel:DWORD
	v_cndmask_b32_e32 v37, v3, v2, vcc
; %bb.230:                              ;   in Loop: Header=BB12_126 Depth=2
	s_or_b64 exec, exec, s[50:51]
	v_and_b32_e32 v2, 0xffff0000, v26
	v_and_b32_e32 v4, 0xffff0000, v32
	v_pk_add_f32 v[2:3], v[2:3], v[4:5] op_sel_hi:[0,1]
	v_and_b32_e32 v3, 0x7f800000, v2
	v_cmp_ne_u32_e32 vcc, s70, v3
                                        ; implicit-def: $vgpr32
	s_and_saveexec_b64 s[50:51], vcc
	s_xor_b64 vcc, exec, s[50:51]
; %bb.231:                              ;   in Loop: Header=BB12_126 Depth=2
	v_bfe_u32 v3, v2, 16, 1
	v_add3_u32 v32, v2, v3, s71
                                        ; implicit-def: $vgpr2_vgpr3
; %bb.232:                              ;   in Loop: Header=BB12_126 Depth=2
	s_andn2_saveexec_b64 s[50:51], vcc
; %bb.233:                              ;   in Loop: Header=BB12_126 Depth=2
	v_or_b32_e32 v3, 0x10000, v2
	v_cmp_eq_u32_sdwa vcc, v2, v60 src0_sel:WORD_0 src1_sel:DWORD
	v_cndmask_b32_e32 v32, v3, v2, vcc
; %bb.234:                              ;   in Loop: Header=BB12_126 Depth=2
	s_or_b64 exec, exec, s[50:51]
	v_mov_b32_e32 v3, v27
	v_lshlrev_b32_e32 v2, 16, v3
	v_lshlrev_b32_e32 v4, 16, v33
	v_pk_add_f32 v[26:27], v[2:3], v[4:5] op_sel_hi:[0,1]
	v_and_b32_e32 v2, 0x7f800000, v26
	v_cmp_ne_u32_e32 vcc, s70, v2
                                        ; implicit-def: $vgpr39
	s_and_saveexec_b64 s[50:51], vcc
	s_xor_b64 vcc, exec, s[50:51]
; %bb.235:                              ;   in Loop: Header=BB12_126 Depth=2
	v_bfe_u32 v2, v26, 16, 1
	v_add3_u32 v39, v26, v2, s71
                                        ; implicit-def: $vgpr26_vgpr27
; %bb.236:                              ;   in Loop: Header=BB12_126 Depth=2
	s_andn2_saveexec_b64 s[50:51], vcc
; %bb.237:                              ;   in Loop: Header=BB12_126 Depth=2
	v_or_b32_e32 v2, 0x10000, v26
	v_cmp_eq_u32_sdwa vcc, v26, v60 src0_sel:WORD_0 src1_sel:DWORD
	v_cndmask_b32_e32 v39, v2, v26, vcc
; %bb.238:                              ;   in Loop: Header=BB12_126 Depth=2
	s_or_b64 exec, exec, s[50:51]
	v_and_b32_e32 v2, 0xffff0000, v3
	v_and_b32_e32 v4, 0xffff0000, v33
	v_pk_add_f32 v[2:3], v[2:3], v[4:5] op_sel_hi:[0,1]
	v_and_b32_e32 v3, 0x7f800000, v2
	v_cmp_ne_u32_e32 vcc, s70, v3
                                        ; implicit-def: $vgpr4
	s_and_saveexec_b64 s[50:51], vcc
	s_xor_b64 vcc, exec, s[50:51]
; %bb.239:                              ;   in Loop: Header=BB12_126 Depth=2
	v_bfe_u32 v3, v2, 16, 1
	v_add3_u32 v4, v2, v3, s71
                                        ; implicit-def: $vgpr2_vgpr3
; %bb.240:                              ;   in Loop: Header=BB12_126 Depth=2
	s_andn2_saveexec_b64 s[50:51], vcc
; %bb.241:                              ;   in Loop: Header=BB12_126 Depth=2
	v_or_b32_e32 v3, 0x10000, v2
	v_cmp_eq_u32_sdwa vcc, v2, v60 src0_sel:WORD_0 src1_sel:DWORD
	v_cndmask_b32_e32 v4, v3, v2, vcc
; %bb.242:                              ;   in Loop: Header=BB12_126 Depth=2
	s_or_b64 exec, exec, s[50:51]
	v_lshlrev_b32_e32 v2, 16, v28
	v_lshlrev_b32_e32 v6, 16, v34
	v_pk_add_f32 v[2:3], v[2:3], v[6:7] op_sel_hi:[0,1]
	v_and_b32_e32 v3, 0x7f800000, v2
	v_cmp_ne_u32_e32 vcc, s70, v3
                                        ; implicit-def: $vgpr5
	s_and_saveexec_b64 s[50:51], vcc
	s_xor_b64 vcc, exec, s[50:51]
; %bb.243:                              ;   in Loop: Header=BB12_126 Depth=2
	v_bfe_u32 v3, v2, 16, 1
	v_add3_u32 v5, v2, v3, s71
                                        ; implicit-def: $vgpr2_vgpr3
; %bb.244:                              ;   in Loop: Header=BB12_126 Depth=2
	s_andn2_saveexec_b64 s[50:51], vcc
; %bb.245:                              ;   in Loop: Header=BB12_126 Depth=2
	v_or_b32_e32 v3, 0x10000, v2
	v_cmp_eq_u32_sdwa vcc, v2, v60 src0_sel:WORD_0 src1_sel:DWORD
	v_cndmask_b32_e32 v5, v3, v2, vcc
; %bb.246:                              ;   in Loop: Header=BB12_126 Depth=2
	s_or_b64 exec, exec, s[50:51]
	v_and_b32_e32 v2, 0xffff0000, v28
	v_and_b32_e32 v6, 0xffff0000, v34
	v_pk_add_f32 v[2:3], v[2:3], v[6:7] op_sel_hi:[0,1]
	v_and_b32_e32 v3, 0x7f800000, v2
	v_cmp_ne_u32_e32 vcc, s70, v3
                                        ; implicit-def: $vgpr28
	s_and_saveexec_b64 s[50:51], vcc
	s_xor_b64 vcc, exec, s[50:51]
; %bb.247:                              ;   in Loop: Header=BB12_126 Depth=2
	v_bfe_u32 v3, v2, 16, 1
	v_add3_u32 v28, v2, v3, s71
                                        ; implicit-def: $vgpr2_vgpr3
; %bb.248:                              ;   in Loop: Header=BB12_126 Depth=2
	s_andn2_saveexec_b64 s[50:51], vcc
; %bb.249:                              ;   in Loop: Header=BB12_126 Depth=2
	v_or_b32_e32 v3, 0x10000, v2
	v_cmp_eq_u32_sdwa vcc, v2, v60 src0_sel:WORD_0 src1_sel:DWORD
	v_cndmask_b32_e32 v28, v3, v2, vcc
; %bb.250:                              ;   in Loop: Header=BB12_126 Depth=2
	s_or_b64 exec, exec, s[50:51]
	v_mov_b32_e32 v3, v35
	v_lshlrev_b32_e32 v2, 16, v29
	v_lshlrev_b32_e32 v6, 16, v3
	v_pk_add_f32 v[26:27], v[2:3], v[6:7] op_sel_hi:[0,1]
	v_and_b32_e32 v2, 0x7f800000, v26
	v_cmp_ne_u32_e32 vcc, s70, v2
                                        ; implicit-def: $vgpr6
	s_and_saveexec_b64 s[50:51], vcc
	s_xor_b64 vcc, exec, s[50:51]
; %bb.251:                              ;   in Loop: Header=BB12_126 Depth=2
	v_bfe_u32 v2, v26, 16, 1
	v_add3_u32 v6, v26, v2, s71
                                        ; implicit-def: $vgpr26_vgpr27
; %bb.252:                              ;   in Loop: Header=BB12_126 Depth=2
	s_andn2_saveexec_b64 s[50:51], vcc
; %bb.253:                              ;   in Loop: Header=BB12_126 Depth=2
	v_or_b32_e32 v2, 0x10000, v26
	v_cmp_eq_u32_sdwa vcc, v26, v60 src0_sel:WORD_0 src1_sel:DWORD
	v_cndmask_b32_e32 v6, v2, v26, vcc
; %bb.254:                              ;   in Loop: Header=BB12_126 Depth=2
	s_or_b64 exec, exec, s[50:51]
	v_and_b32_e32 v2, 0xffff0000, v29
	v_and_b32_e32 v8, 0xffff0000, v3
	v_pk_add_f32 v[2:3], v[2:3], v[8:9] op_sel_hi:[0,1]
	v_and_b32_e32 v3, 0x7f800000, v2
	v_cmp_ne_u32_e32 vcc, s70, v3
                                        ; implicit-def: $vgpr7
	s_and_saveexec_b64 s[50:51], vcc
	s_xor_b64 vcc, exec, s[50:51]
; %bb.255:                              ;   in Loop: Header=BB12_126 Depth=2
	v_bfe_u32 v3, v2, 16, 1
	v_add3_u32 v7, v2, v3, s71
                                        ; implicit-def: $vgpr2_vgpr3
; %bb.256:                              ;   in Loop: Header=BB12_126 Depth=2
	s_or_saveexec_b64 s[50:51], vcc
	v_mov_b32_e32 v9, v43
	v_mov_b32_e32 v8, v42
	s_xor_b64 exec, exec, s[50:51]
	s_cbranch_execz .LBB12_125
; %bb.257:                              ;   in Loop: Header=BB12_126 Depth=2
	v_or_b32_e32 v3, 0x10000, v2
	v_cmp_eq_u32_sdwa vcc, v2, v60 src0_sel:WORD_0 src1_sel:DWORD
	v_cndmask_b32_e32 v7, v3, v2, vcc
	s_branch .LBB12_125
.LBB12_258:                             ;   in Loop: Header=BB12_49 Depth=1
	s_or_b64 exec, exec, s[24:25]
	s_and_b64 s[24:25], s[26:27], exec
	v_accvgpr_read_b32 v28, a34
	v_accvgpr_read_b32 v29, a35
	;; [unrolled: 1-line block ×5, first 2 shown]
.LBB12_259:                             ;   in Loop: Header=BB12_49 Depth=1
	s_or_b64 exec, exec, s[22:23]
	s_and_saveexec_b64 s[22:23], s[24:25]
	s_cbranch_execz .LBB12_325
; %bb.260:                              ;   in Loop: Header=BB12_49 Depth=1
	v_lshlrev_b32_e32 v2, 16, v22
	v_lshlrev_b32_e32 v4, 16, v18
	v_pk_add_f32 v[2:3], v[2:3], v[4:5] op_sel_hi:[0,1]
	v_and_b32_e32 v3, 0x7f800000, v2
	v_cmp_ne_u32_e32 vcc, s70, v3
                                        ; implicit-def: $vgpr26
	s_and_saveexec_b64 s[24:25], vcc
	s_xor_b64 s[24:25], exec, s[24:25]
; %bb.261:                              ;   in Loop: Header=BB12_49 Depth=1
	v_bfe_u32 v3, v2, 16, 1
	v_add3_u32 v26, v2, v3, s71
                                        ; implicit-def: $vgpr2_vgpr3
; %bb.262:                              ;   in Loop: Header=BB12_49 Depth=1
	s_andn2_saveexec_b64 s[24:25], s[24:25]
; %bb.263:                              ;   in Loop: Header=BB12_49 Depth=1
	v_or_b32_e32 v3, 0x10000, v2
	v_cmp_eq_u32_sdwa vcc, v2, v60 src0_sel:WORD_0 src1_sel:DWORD
	v_cndmask_b32_e32 v26, v3, v2, vcc
; %bb.264:                              ;   in Loop: Header=BB12_49 Depth=1
	s_or_b64 exec, exec, s[24:25]
	v_mov_b32_e32 v2, v18
	v_mov_b32_e32 v3, v22
	v_and_b32_e32 v4, 0xffff0000, v3
	v_and_b32_e32 v2, 0xffff0000, v2
	v_pk_add_f32 v[2:3], v[4:5], v[2:3] op_sel_hi:[0,1]
	v_and_b32_e32 v3, 0x7f800000, v2
	v_cmp_ne_u32_e32 vcc, s70, v3
                                        ; implicit-def: $vgpr18
	s_and_saveexec_b64 s[24:25], vcc
	s_xor_b64 s[24:25], exec, s[24:25]
; %bb.265:                              ;   in Loop: Header=BB12_49 Depth=1
	v_bfe_u32 v3, v2, 16, 1
	v_add3_u32 v18, v2, v3, s71
                                        ; implicit-def: $vgpr2_vgpr3
; %bb.266:                              ;   in Loop: Header=BB12_49 Depth=1
	s_andn2_saveexec_b64 s[24:25], s[24:25]
; %bb.267:                              ;   in Loop: Header=BB12_49 Depth=1
	v_or_b32_e32 v3, 0x10000, v2
	v_cmp_eq_u32_sdwa vcc, v2, v60 src0_sel:WORD_0 src1_sel:DWORD
	v_cndmask_b32_e32 v18, v3, v2, vcc
; %bb.268:                              ;   in Loop: Header=BB12_49 Depth=1
	s_or_b64 exec, exec, s[24:25]
	v_lshlrev_b32_e32 v2, 16, v23
	v_lshlrev_b32_e32 v4, 16, v19
	v_pk_add_f32 v[2:3], v[2:3], v[4:5] op_sel_hi:[0,1]
	v_and_b32_e32 v3, 0x7f800000, v2
	v_cmp_ne_u32_e32 vcc, s70, v3
                                        ; implicit-def: $vgpr22
	s_and_saveexec_b64 s[24:25], vcc
	s_xor_b64 s[24:25], exec, s[24:25]
; %bb.269:                              ;   in Loop: Header=BB12_49 Depth=1
	v_bfe_u32 v3, v2, 16, 1
	v_add3_u32 v22, v2, v3, s71
                                        ; implicit-def: $vgpr2_vgpr3
; %bb.270:                              ;   in Loop: Header=BB12_49 Depth=1
	s_andn2_saveexec_b64 s[24:25], s[24:25]
; %bb.271:                              ;   in Loop: Header=BB12_49 Depth=1
	v_or_b32_e32 v3, 0x10000, v2
	v_cmp_eq_u32_sdwa vcc, v2, v60 src0_sel:WORD_0 src1_sel:DWORD
	v_cndmask_b32_e32 v22, v3, v2, vcc
; %bb.272:                              ;   in Loop: Header=BB12_49 Depth=1
	s_or_b64 exec, exec, s[24:25]
	v_mov_b32_e32 v2, v19
	v_and_b32_e32 v4, 0xffff0000, v23
	v_and_b32_e32 v2, 0xffff0000, v2
	v_pk_add_f32 v[2:3], v[4:5], v[2:3] op_sel_hi:[0,1]
	v_and_b32_e32 v3, 0x7f800000, v2
	v_cmp_ne_u32_e32 vcc, s70, v3
                                        ; implicit-def: $vgpr19
	s_and_saveexec_b64 s[24:25], vcc
	s_xor_b64 s[24:25], exec, s[24:25]
; %bb.273:                              ;   in Loop: Header=BB12_49 Depth=1
	v_bfe_u32 v3, v2, 16, 1
	v_add3_u32 v19, v2, v3, s71
                                        ; implicit-def: $vgpr2_vgpr3
; %bb.274:                              ;   in Loop: Header=BB12_49 Depth=1
	s_andn2_saveexec_b64 s[24:25], s[24:25]
; %bb.275:                              ;   in Loop: Header=BB12_49 Depth=1
	v_or_b32_e32 v3, 0x10000, v2
	v_cmp_eq_u32_sdwa vcc, v2, v60 src0_sel:WORD_0 src1_sel:DWORD
	v_cndmask_b32_e32 v19, v3, v2, vcc
; %bb.276:                              ;   in Loop: Header=BB12_49 Depth=1
	s_or_b64 exec, exec, s[24:25]
	v_lshlrev_b32_e32 v2, 16, v24
	v_lshlrev_b32_e32 v4, 16, v20
	v_pk_add_f32 v[2:3], v[2:3], v[4:5] op_sel_hi:[0,1]
	v_and_b32_e32 v3, 0x7f800000, v2
	v_cmp_ne_u32_e32 vcc, s70, v3
                                        ; implicit-def: $vgpr23
	s_and_saveexec_b64 s[24:25], vcc
	s_xor_b64 s[24:25], exec, s[24:25]
; %bb.277:                              ;   in Loop: Header=BB12_49 Depth=1
	v_bfe_u32 v3, v2, 16, 1
	v_add3_u32 v23, v2, v3, s71
                                        ; implicit-def: $vgpr2_vgpr3
; %bb.278:                              ;   in Loop: Header=BB12_49 Depth=1
	s_andn2_saveexec_b64 s[24:25], s[24:25]
; %bb.279:                              ;   in Loop: Header=BB12_49 Depth=1
	v_or_b32_e32 v3, 0x10000, v2
	v_cmp_eq_u32_sdwa vcc, v2, v60 src0_sel:WORD_0 src1_sel:DWORD
	v_cndmask_b32_e32 v23, v3, v2, vcc
; %bb.280:                              ;   in Loop: Header=BB12_49 Depth=1
	s_or_b64 exec, exec, s[24:25]
	v_mov_b32_e32 v2, v20
	v_mov_b32_e32 v3, v24
	v_and_b32_e32 v4, 0xffff0000, v3
	v_and_b32_e32 v2, 0xffff0000, v2
	v_pk_add_f32 v[2:3], v[4:5], v[2:3] op_sel_hi:[0,1]
	v_and_b32_e32 v3, 0x7f800000, v2
	v_cmp_ne_u32_e32 vcc, s70, v3
                                        ; implicit-def: $vgpr20
	s_and_saveexec_b64 s[24:25], vcc
	s_xor_b64 s[24:25], exec, s[24:25]
; %bb.281:                              ;   in Loop: Header=BB12_49 Depth=1
	v_bfe_u32 v3, v2, 16, 1
	v_add3_u32 v20, v2, v3, s71
                                        ; implicit-def: $vgpr2_vgpr3
; %bb.282:                              ;   in Loop: Header=BB12_49 Depth=1
	s_andn2_saveexec_b64 s[24:25], s[24:25]
; %bb.283:                              ;   in Loop: Header=BB12_49 Depth=1
	v_or_b32_e32 v3, 0x10000, v2
	v_cmp_eq_u32_sdwa vcc, v2, v60 src0_sel:WORD_0 src1_sel:DWORD
	v_cndmask_b32_e32 v20, v3, v2, vcc
; %bb.284:                              ;   in Loop: Header=BB12_49 Depth=1
	s_or_b64 exec, exec, s[24:25]
	v_lshlrev_b32_e32 v2, 16, v25
	v_lshlrev_b32_e32 v4, 16, v21
	v_pk_add_f32 v[2:3], v[2:3], v[4:5] op_sel_hi:[0,1]
	v_and_b32_e32 v3, 0x7f800000, v2
	v_cmp_ne_u32_e32 vcc, s70, v3
                                        ; implicit-def: $vgpr24
	s_and_saveexec_b64 s[24:25], vcc
	s_xor_b64 s[24:25], exec, s[24:25]
; %bb.285:                              ;   in Loop: Header=BB12_49 Depth=1
	v_bfe_u32 v3, v2, 16, 1
	v_add3_u32 v24, v2, v3, s71
                                        ; implicit-def: $vgpr2_vgpr3
; %bb.286:                              ;   in Loop: Header=BB12_49 Depth=1
	s_andn2_saveexec_b64 s[24:25], s[24:25]
; %bb.287:                              ;   in Loop: Header=BB12_49 Depth=1
	v_or_b32_e32 v3, 0x10000, v2
	v_cmp_eq_u32_sdwa vcc, v2, v60 src0_sel:WORD_0 src1_sel:DWORD
	v_cndmask_b32_e32 v24, v3, v2, vcc
; %bb.288:                              ;   in Loop: Header=BB12_49 Depth=1
	s_or_b64 exec, exec, s[24:25]
	v_mov_b32_e32 v2, v21
	v_and_b32_e32 v4, 0xffff0000, v25
	v_and_b32_e32 v2, 0xffff0000, v2
	v_pk_add_f32 v[2:3], v[4:5], v[2:3] op_sel_hi:[0,1]
	v_and_b32_e32 v3, 0x7f800000, v2
	v_cmp_ne_u32_e32 vcc, s70, v3
                                        ; implicit-def: $vgpr21
	s_and_saveexec_b64 s[24:25], vcc
	s_xor_b64 s[24:25], exec, s[24:25]
; %bb.289:                              ;   in Loop: Header=BB12_49 Depth=1
	v_bfe_u32 v3, v2, 16, 1
	v_add3_u32 v21, v2, v3, s71
                                        ; implicit-def: $vgpr2_vgpr3
; %bb.290:                              ;   in Loop: Header=BB12_49 Depth=1
	s_andn2_saveexec_b64 s[24:25], s[24:25]
; %bb.291:                              ;   in Loop: Header=BB12_49 Depth=1
	v_or_b32_e32 v3, 0x10000, v2
	v_cmp_eq_u32_sdwa vcc, v2, v60 src0_sel:WORD_0 src1_sel:DWORD
	v_cndmask_b32_e32 v21, v3, v2, vcc
; %bb.292:                              ;   in Loop: Header=BB12_49 Depth=1
	s_or_b64 exec, exec, s[24:25]
	v_lshlrev_b32_e32 v2, 16, v14
	v_lshlrev_b32_e32 v4, 16, v10
	v_pk_add_f32 v[2:3], v[2:3], v[4:5] op_sel_hi:[0,1]
	v_and_b32_e32 v3, 0x7f800000, v2
	v_cmp_ne_u32_e32 vcc, s70, v3
                                        ; implicit-def: $vgpr25
	s_and_saveexec_b64 s[24:25], vcc
	s_xor_b64 s[24:25], exec, s[24:25]
; %bb.293:                              ;   in Loop: Header=BB12_49 Depth=1
	v_bfe_u32 v3, v2, 16, 1
	v_add3_u32 v25, v2, v3, s71
                                        ; implicit-def: $vgpr2_vgpr3
; %bb.294:                              ;   in Loop: Header=BB12_49 Depth=1
	s_andn2_saveexec_b64 s[24:25], s[24:25]
; %bb.295:                              ;   in Loop: Header=BB12_49 Depth=1
	v_or_b32_e32 v3, 0x10000, v2
	v_cmp_eq_u32_sdwa vcc, v2, v60 src0_sel:WORD_0 src1_sel:DWORD
	v_cndmask_b32_e32 v25, v3, v2, vcc
; %bb.296:                              ;   in Loop: Header=BB12_49 Depth=1
	s_or_b64 exec, exec, s[24:25]
	v_mov_b32_e32 v2, v10
	v_mov_b32_e32 v3, v14
	v_and_b32_e32 v4, 0xffff0000, v3
	v_and_b32_e32 v2, 0xffff0000, v2
	v_pk_add_f32 v[2:3], v[4:5], v[2:3] op_sel_hi:[0,1]
	v_and_b32_e32 v3, 0x7f800000, v2
	v_cmp_ne_u32_e32 vcc, s70, v3
                                        ; implicit-def: $vgpr10
	s_and_saveexec_b64 s[24:25], vcc
	s_xor_b64 s[24:25], exec, s[24:25]
; %bb.297:                              ;   in Loop: Header=BB12_49 Depth=1
	v_bfe_u32 v3, v2, 16, 1
	v_add3_u32 v10, v2, v3, s71
                                        ; implicit-def: $vgpr2_vgpr3
; %bb.298:                              ;   in Loop: Header=BB12_49 Depth=1
	s_andn2_saveexec_b64 s[24:25], s[24:25]
; %bb.299:                              ;   in Loop: Header=BB12_49 Depth=1
	v_or_b32_e32 v3, 0x10000, v2
	v_cmp_eq_u32_sdwa vcc, v2, v60 src0_sel:WORD_0 src1_sel:DWORD
	v_cndmask_b32_e32 v10, v3, v2, vcc
; %bb.300:                              ;   in Loop: Header=BB12_49 Depth=1
	s_or_b64 exec, exec, s[24:25]
	v_lshlrev_b32_e32 v2, 16, v15
	v_lshlrev_b32_e32 v4, 16, v11
	v_pk_add_f32 v[2:3], v[2:3], v[4:5] op_sel_hi:[0,1]
	v_and_b32_e32 v3, 0x7f800000, v2
	v_cmp_ne_u32_e32 vcc, s70, v3
                                        ; implicit-def: $vgpr14
	s_and_saveexec_b64 s[24:25], vcc
	s_xor_b64 s[24:25], exec, s[24:25]
; %bb.301:                              ;   in Loop: Header=BB12_49 Depth=1
	v_bfe_u32 v3, v2, 16, 1
	v_add3_u32 v14, v2, v3, s71
                                        ; implicit-def: $vgpr2_vgpr3
; %bb.302:                              ;   in Loop: Header=BB12_49 Depth=1
	s_andn2_saveexec_b64 s[24:25], s[24:25]
; %bb.303:                              ;   in Loop: Header=BB12_49 Depth=1
	v_or_b32_e32 v3, 0x10000, v2
	v_cmp_eq_u32_sdwa vcc, v2, v60 src0_sel:WORD_0 src1_sel:DWORD
	v_cndmask_b32_e32 v14, v3, v2, vcc
; %bb.304:                              ;   in Loop: Header=BB12_49 Depth=1
	s_or_b64 exec, exec, s[24:25]
	v_mov_b32_e32 v2, v11
	v_and_b32_e32 v4, 0xffff0000, v15
	v_and_b32_e32 v2, 0xffff0000, v2
	v_pk_add_f32 v[2:3], v[4:5], v[2:3] op_sel_hi:[0,1]
	v_and_b32_e32 v3, 0x7f800000, v2
	v_cmp_ne_u32_e32 vcc, s70, v3
                                        ; implicit-def: $vgpr4
	s_and_saveexec_b64 s[24:25], vcc
	s_xor_b64 s[24:25], exec, s[24:25]
; %bb.305:                              ;   in Loop: Header=BB12_49 Depth=1
	v_bfe_u32 v3, v2, 16, 1
	v_add3_u32 v4, v2, v3, s71
                                        ; implicit-def: $vgpr2_vgpr3
; %bb.306:                              ;   in Loop: Header=BB12_49 Depth=1
	s_andn2_saveexec_b64 s[24:25], s[24:25]
; %bb.307:                              ;   in Loop: Header=BB12_49 Depth=1
	v_or_b32_e32 v3, 0x10000, v2
	v_cmp_eq_u32_sdwa vcc, v2, v60 src0_sel:WORD_0 src1_sel:DWORD
	v_cndmask_b32_e32 v4, v3, v2, vcc
; %bb.308:                              ;   in Loop: Header=BB12_49 Depth=1
	s_or_b64 exec, exec, s[24:25]
	v_lshlrev_b32_e32 v2, 16, v16
	v_lshlrev_b32_e32 v6, 16, v12
	v_pk_add_f32 v[2:3], v[2:3], v[6:7] op_sel_hi:[0,1]
	v_and_b32_e32 v3, 0x7f800000, v2
	v_cmp_ne_u32_e32 vcc, s70, v3
                                        ; implicit-def: $vgpr5
	s_and_saveexec_b64 s[24:25], vcc
	s_xor_b64 s[24:25], exec, s[24:25]
; %bb.309:                              ;   in Loop: Header=BB12_49 Depth=1
	v_bfe_u32 v3, v2, 16, 1
	v_add3_u32 v5, v2, v3, s71
                                        ; implicit-def: $vgpr2_vgpr3
; %bb.310:                              ;   in Loop: Header=BB12_49 Depth=1
	s_andn2_saveexec_b64 s[24:25], s[24:25]
; %bb.311:                              ;   in Loop: Header=BB12_49 Depth=1
	v_or_b32_e32 v3, 0x10000, v2
	v_cmp_eq_u32_sdwa vcc, v2, v60 src0_sel:WORD_0 src1_sel:DWORD
	v_cndmask_b32_e32 v5, v3, v2, vcc
; %bb.312:                              ;   in Loop: Header=BB12_49 Depth=1
	s_or_b64 exec, exec, s[24:25]
	v_mov_b32_e32 v2, v12
	v_mov_b32_e32 v3, v16
	v_and_b32_e32 v6, 0xffff0000, v3
	v_and_b32_e32 v2, 0xffff0000, v2
	v_pk_add_f32 v[2:3], v[6:7], v[2:3] op_sel_hi:[0,1]
	v_and_b32_e32 v3, 0x7f800000, v2
	v_cmp_ne_u32_e32 vcc, s70, v3
                                        ; implicit-def: $vgpr11
	s_and_saveexec_b64 s[24:25], vcc
	s_xor_b64 s[24:25], exec, s[24:25]
; %bb.313:                              ;   in Loop: Header=BB12_49 Depth=1
	v_bfe_u32 v3, v2, 16, 1
	v_add3_u32 v11, v2, v3, s71
                                        ; implicit-def: $vgpr2_vgpr3
; %bb.314:                              ;   in Loop: Header=BB12_49 Depth=1
	s_andn2_saveexec_b64 s[24:25], s[24:25]
; %bb.315:                              ;   in Loop: Header=BB12_49 Depth=1
	v_or_b32_e32 v3, 0x10000, v2
	v_cmp_eq_u32_sdwa vcc, v2, v60 src0_sel:WORD_0 src1_sel:DWORD
	v_cndmask_b32_e32 v11, v3, v2, vcc
; %bb.316:                              ;   in Loop: Header=BB12_49 Depth=1
	s_or_b64 exec, exec, s[24:25]
	v_lshlrev_b32_e32 v2, 16, v17
	v_lshlrev_b32_e32 v6, 16, v13
	v_pk_add_f32 v[2:3], v[2:3], v[6:7] op_sel_hi:[0,1]
	v_and_b32_e32 v3, 0x7f800000, v2
	v_cmp_ne_u32_e32 vcc, s70, v3
                                        ; implicit-def: $vgpr6
	s_and_saveexec_b64 s[24:25], vcc
	s_xor_b64 s[24:25], exec, s[24:25]
; %bb.317:                              ;   in Loop: Header=BB12_49 Depth=1
	v_bfe_u32 v3, v2, 16, 1
	v_add3_u32 v6, v2, v3, s71
                                        ; implicit-def: $vgpr2_vgpr3
; %bb.318:                              ;   in Loop: Header=BB12_49 Depth=1
	s_andn2_saveexec_b64 s[24:25], s[24:25]
; %bb.319:                              ;   in Loop: Header=BB12_49 Depth=1
	v_or_b32_e32 v3, 0x10000, v2
	v_cmp_eq_u32_sdwa vcc, v2, v60 src0_sel:WORD_0 src1_sel:DWORD
	v_cndmask_b32_e32 v6, v3, v2, vcc
; %bb.320:                              ;   in Loop: Header=BB12_49 Depth=1
	s_or_b64 exec, exec, s[24:25]
	v_mov_b32_e32 v2, v13
	v_and_b32_e32 v8, 0xffff0000, v17
	v_and_b32_e32 v2, 0xffff0000, v2
	v_pk_add_f32 v[2:3], v[8:9], v[2:3] op_sel_hi:[0,1]
	v_and_b32_e32 v3, 0x7f800000, v2
	v_cmp_ne_u32_e32 vcc, s70, v3
                                        ; implicit-def: $vgpr7
	s_and_saveexec_b64 s[24:25], vcc
	s_xor_b64 s[24:25], exec, s[24:25]
; %bb.321:                              ;   in Loop: Header=BB12_49 Depth=1
	v_bfe_u32 v3, v2, 16, 1
	v_add3_u32 v7, v2, v3, s71
                                        ; implicit-def: $vgpr2_vgpr3
; %bb.322:                              ;   in Loop: Header=BB12_49 Depth=1
	s_andn2_saveexec_b64 s[24:25], s[24:25]
; %bb.323:                              ;   in Loop: Header=BB12_49 Depth=1
	v_or_b32_e32 v3, 0x10000, v2
	v_cmp_eq_u32_sdwa vcc, v2, v60 src0_sel:WORD_0 src1_sel:DWORD
	v_cndmask_b32_e32 v7, v3, v2, vcc
; %bb.324:                              ;   in Loop: Header=BB12_49 Depth=1
	s_or_b64 exec, exec, s[24:25]
	v_lshrrev_b32_e32 v2, 16, v22
	v_and_or_b32 v17, v19, s72, v2
	v_lshrrev_b32_e32 v2, 16, v26
	v_and_or_b32 v16, v18, s72, v2
	;; [unrolled: 2-line block ×5, first 2 shown]
	v_lshrrev_b32_e32 v2, 16, v25
	v_lshrrev_b32_e32 v4, 16, v5
	;; [unrolled: 1-line block ×3, first 2 shown]
	v_and_or_b32 v2, v10, s72, v2
	v_and_or_b32 v4, v11, s72, v4
	;; [unrolled: 1-line block ×3, first 2 shown]
	global_store_dwordx4 v[0:1], v[16:19], off glc slc
	global_store_dwordx4 v[0:1], v[2:5], off offset:1024 glc slc
.LBB12_325:                             ;   in Loop: Header=BB12_49 Depth=1
	s_or_b64 exec, exec, s[22:23]
	v_accvgpr_read_b32 v0, a49
	v_lshlrev_b32_e32 v16, 11, v0
	v_cmp_ne_u32_e32 vcc, v33, v16
	s_mov_b64 s[22:23], 0
	v_mov_b32_e32 v14, 0
                                        ; implicit-def: $vgpr15
                                        ; implicit-def: $vgpr0
	s_and_saveexec_b64 s[48:49], vcc
	s_cbranch_execz .LBB12_440
; %bb.326:                              ;   in Loop: Header=BB12_49 Depth=1
	v_lshlrev_b32_e32 v1, 6, v45
	v_accvgpr_read_b32 v2, a19
	v_sub_u32_e32 v1, v2, v1
	v_ashrrev_i32_e32 v2, 31, v1
	v_lshrrev_b32_e32 v2, 26, v2
	v_add_u32_e32 v2, v1, v2
	v_ashrrev_i32_e32 v3, 6, v2
	v_and_b32_e32 v2, 0xffffffc0, v2
	v_sub_u32_e32 v17, v1, v2
	v_lshlrev_b32_e32 v1, 4, v17
	v_sub_u32_e32 v0, v33, v16
	v_lshl_add_u32 v1, v3, 10, v1
	v_add_u32_e32 v10, v1, v16
	v_sub_u32_e32 v14, v0, v1
	v_ashrrev_i32_e32 v1, 31, v0
	v_lshrrev_b32_e32 v1, 22, v1
	v_add_u32_e32 v1, v0, v1
	v_and_b32_e32 v18, 0xfffffc00, v1
	v_sub_u32_e32 v19, v0, v18
	v_ashrrev_i32_e32 v2, 10, v1
	v_cmp_lt_i32_e64 s[22:23], 15, v19
	v_addc_co_u32_e64 v0, vcc, 0, v2, s[22:23]
	v_sub_u32_e32 v20, v0, v3
	v_accvgpr_read_b32 v0, a50
	v_ashrrev_i32_e32 v11, 31, v10
	v_accvgpr_read_b32 v1, a51
	v_add_co_u32_e32 v0, vcc, v10, v0
	v_addc_co_u32_e32 v1, vcc, v11, v1, vcc
	v_cmp_lt_i32_e32 vcc, 15, v14
	s_mov_b64 s[26:27], 0
	s_and_saveexec_b64 s[50:51], vcc
	s_cbranch_execz .LBB12_403
; %bb.327:                              ;   in Loop: Header=BB12_49 Depth=1
	s_trap 2
	ds_read_b128 v[2:5], v0
	s_mov_b64 s[56:57], 0
	s_mov_b64 s[52:53], 0
                                        ; implicit-def: $sgpr54_sgpr55
	s_waitcnt lgkmcnt(0)
	v_add_co_u32_e32 v2, vcc, v2, v10
	v_addc_co_u32_e32 v3, vcc, v3, v11, vcc
	v_add_co_u32_e32 v10, vcc, v4, v10
	v_addc_co_u32_e32 v11, vcc, v5, v11, vcc
	s_branch .LBB12_329
.LBB12_328:                             ;   in Loop: Header=BB12_329 Depth=2
	s_or_b64 exec, exec, s[24:25]
	v_cmp_gt_i32_e32 vcc, 16, v14
	s_or_b64 s[52:53], vcc, s[52:53]
	s_andn2_b64 s[24:25], s[54:55], exec
	s_and_b64 s[26:27], s[56:57], exec
	s_or_b64 s[54:55], s[24:25], s[26:27]
	s_andn2_b64 exec, exec, s[52:53]
	s_cbranch_execz .LBB12_402
.LBB12_329:                             ;   Parent Loop BB12_49 Depth=1
                                        ; =>  This Loop Header: Depth=2
                                        ;       Child Loop BB12_330 Depth 3
                                        ;       Child Loop BB12_367 Depth 3
	v_lshrrev_b32_e64 v4, 6, s33
	v_add_u32_e32 v4, 0x90, v4
	s_mov_b64 s[58:59], -1
	s_mov_b64 s[60:61], 0
.LBB12_330:                             ;   Parent Loop BB12_49 Depth=1
                                        ;     Parent Loop BB12_329 Depth=2
                                        ; =>    This Inner Loop Header: Depth=3
	s_cmp_eq_u32 s60, 1
	s_cselect_b64 s[24:25], -1, 0
	v_cndmask_b32_e64 v13, v3, v11, s[24:25]
	v_cndmask_b32_e64 v12, v2, v10, s[24:25]
	global_load_dwordx4 v[6:9], v[12:13], off glc slc
	v_add_co_u32_e32 v5, vcc, s67, v12
	s_cmp_eq_u32 s60, 0
	v_addc_co_u32_e32 v12, vcc, 0, v13, vcc
	s_cselect_b64 vcc, -1, 0
	s_and_b64 s[26:27], exec, s[58:59]
	s_mov_b64 s[60:61], 1
	v_cndmask_b32_e64 v10, v10, v5, s[24:25]
	s_mov_b64 s[58:59], 0
	v_cndmask_b32_e32 v3, v3, v12, vcc
	v_cndmask_b32_e32 v2, v2, v5, vcc
	v_cndmask_b32_e64 v11, v11, v12, s[24:25]
	s_mov_b64 vcc, s[26:27]
	s_waitcnt vmcnt(0)
	buffer_store_dword v7, v4, s[0:3], 0 offen offset:4
	buffer_store_dword v6, v4, s[0:3], 0 offen
	buffer_store_dword v9, v4, s[0:3], 0 offen offset:12
	buffer_store_dword v8, v4, s[0:3], 0 offen offset:8
	v_mov_b32_e32 v4, v54
	s_cbranch_vccnz .LBB12_330
; %bb.331:                              ;   in Loop: Header=BB12_329 Depth=2
	s_and_saveexec_b64 s[24:25], s[56:57]
	s_cbranch_execz .LBB12_365
; %bb.332:                              ;   in Loop: Header=BB12_329 Depth=2
	buffer_load_dword v7, off, s[0:3], s33 offset:192
	buffer_load_dword v6, off, s[0:3], s33 offset:176
	;; [unrolled: 1-line block ×8, first 2 shown]
                                        ; implicit-def: $vgpr15
	s_waitcnt vmcnt(7)
	v_lshlrev_b32_e32 v8, 16, v7
	s_waitcnt vmcnt(6)
	v_lshlrev_b32_e32 v12, 16, v6
	v_pk_add_f32 v[12:13], v[8:9], v[12:13] op_sel_hi:[0,1]
	v_and_b32_e32 v8, 0x7f800000, v12
	v_cmp_ne_u32_e32 vcc, s70, v8
	s_and_saveexec_b64 s[26:27], vcc
	s_xor_b64 s[26:27], exec, s[26:27]
; %bb.333:                              ;   in Loop: Header=BB12_329 Depth=2
	v_bfe_u32 v8, v12, 16, 1
	v_add3_u32 v15, v12, v8, s71
                                        ; implicit-def: $vgpr12_vgpr13
; %bb.334:                              ;   in Loop: Header=BB12_329 Depth=2
	s_andn2_saveexec_b64 s[26:27], s[26:27]
; %bb.335:                              ;   in Loop: Header=BB12_329 Depth=2
	v_or_b32_e32 v8, 0x10000, v12
	v_cmp_eq_u32_sdwa vcc, v12, v60 src0_sel:WORD_0 src1_sel:DWORD
	v_cndmask_b32_e32 v15, v8, v12, vcc
; %bb.336:                              ;   in Loop: Header=BB12_329 Depth=2
	s_or_b64 exec, exec, s[26:27]
	v_and_b32_e32 v8, 0xffff0000, v7
	v_and_b32_e32 v6, 0xffff0000, v6
	v_pk_add_f32 v[12:13], v[8:9], v[6:7] op_sel_hi:[0,1]
	v_and_b32_e32 v6, 0x7f800000, v12
	v_cmp_ne_u32_e32 vcc, s70, v6
                                        ; implicit-def: $vgpr23
	s_and_saveexec_b64 s[26:27], vcc
	s_xor_b64 s[26:27], exec, s[26:27]
; %bb.337:                              ;   in Loop: Header=BB12_329 Depth=2
	v_bfe_u32 v6, v12, 16, 1
	v_add3_u32 v23, v12, v6, s71
                                        ; implicit-def: $vgpr12_vgpr13
; %bb.338:                              ;   in Loop: Header=BB12_329 Depth=2
	s_andn2_saveexec_b64 s[26:27], s[26:27]
; %bb.339:                              ;   in Loop: Header=BB12_329 Depth=2
	v_or_b32_e32 v6, 0x10000, v12
	v_cmp_eq_u32_sdwa vcc, v12, v60 src0_sel:WORD_0 src1_sel:DWORD
	v_cndmask_b32_e32 v23, v6, v12, vcc
; %bb.340:                              ;   in Loop: Header=BB12_329 Depth=2
	s_or_b64 exec, exec, s[26:27]
	s_waitcnt vmcnt(2)
	v_lshlrev_b32_e32 v6, 16, v26
	v_lshlrev_b32_e32 v8, 16, v5
	v_pk_add_f32 v[12:13], v[6:7], v[8:9] op_sel_hi:[0,1]
	v_and_b32_e32 v6, 0x7f800000, v12
	v_cmp_ne_u32_e32 vcc, s70, v6
                                        ; implicit-def: $vgpr24
	s_and_saveexec_b64 s[26:27], vcc
	s_xor_b64 s[26:27], exec, s[26:27]
; %bb.341:                              ;   in Loop: Header=BB12_329 Depth=2
	v_bfe_u32 v6, v12, 16, 1
	v_add3_u32 v24, v12, v6, s71
                                        ; implicit-def: $vgpr12_vgpr13
; %bb.342:                              ;   in Loop: Header=BB12_329 Depth=2
	s_andn2_saveexec_b64 s[26:27], s[26:27]
; %bb.343:                              ;   in Loop: Header=BB12_329 Depth=2
	v_or_b32_e32 v6, 0x10000, v12
	v_cmp_eq_u32_sdwa vcc, v12, v60 src0_sel:WORD_0 src1_sel:DWORD
	v_cndmask_b32_e32 v24, v6, v12, vcc
; %bb.344:                              ;   in Loop: Header=BB12_329 Depth=2
	s_or_b64 exec, exec, s[26:27]
	v_and_b32_e32 v6, 0xffff0000, v26
	v_and_b32_e32 v8, 0xffff0000, v5
	v_pk_add_f32 v[12:13], v[6:7], v[8:9] op_sel_hi:[0,1]
	v_and_b32_e32 v5, 0x7f800000, v12
	v_cmp_ne_u32_e32 vcc, s70, v5
                                        ; implicit-def: $vgpr26
	s_and_saveexec_b64 s[26:27], vcc
	s_xor_b64 s[26:27], exec, s[26:27]
; %bb.345:                              ;   in Loop: Header=BB12_329 Depth=2
	v_bfe_u32 v5, v12, 16, 1
	v_add3_u32 v26, v12, v5, s71
                                        ; implicit-def: $vgpr12_vgpr13
; %bb.346:                              ;   in Loop: Header=BB12_329 Depth=2
	s_andn2_saveexec_b64 s[26:27], s[26:27]
; %bb.347:                              ;   in Loop: Header=BB12_329 Depth=2
	v_or_b32_e32 v5, 0x10000, v12
	v_cmp_eq_u32_sdwa vcc, v12, v60 src0_sel:WORD_0 src1_sel:DWORD
	v_cndmask_b32_e32 v26, v5, v12, vcc
; %bb.348:                              ;   in Loop: Header=BB12_329 Depth=2
	s_or_b64 exec, exec, s[26:27]
	s_waitcnt vmcnt(1)
	v_lshlrev_b32_e32 v6, 16, v4
	v_lshlrev_b32_e32 v8, 16, v25
	v_pk_add_f32 v[12:13], v[6:7], v[8:9] op_sel_hi:[0,1]
	v_and_b32_e32 v5, 0x7f800000, v12
	v_cmp_ne_u32_e32 vcc, s70, v5
                                        ; implicit-def: $vgpr5
	s_and_saveexec_b64 s[26:27], vcc
	s_xor_b64 s[26:27], exec, s[26:27]
; %bb.349:                              ;   in Loop: Header=BB12_329 Depth=2
	v_bfe_u32 v5, v12, 16, 1
	v_add3_u32 v5, v12, v5, s71
                                        ; implicit-def: $vgpr12_vgpr13
; %bb.350:                              ;   in Loop: Header=BB12_329 Depth=2
	s_andn2_saveexec_b64 s[26:27], s[26:27]
; %bb.351:                              ;   in Loop: Header=BB12_329 Depth=2
	v_or_b32_e32 v5, 0x10000, v12
	v_cmp_eq_u32_sdwa vcc, v12, v60 src0_sel:WORD_0 src1_sel:DWORD
	v_cndmask_b32_e32 v5, v5, v12, vcc
; %bb.352:                              ;   in Loop: Header=BB12_329 Depth=2
	s_or_b64 exec, exec, s[26:27]
	v_and_b32_e32 v4, 0xffff0000, v4
	v_and_b32_e32 v6, 0xffff0000, v25
	v_pk_add_f32 v[12:13], v[4:5], v[6:7] op_sel_hi:[0,1]
	v_and_b32_e32 v4, 0x7f800000, v12
	v_cmp_ne_u32_e32 vcc, s70, v4
                                        ; implicit-def: $vgpr4
	s_and_saveexec_b64 s[26:27], vcc
	s_xor_b64 s[26:27], exec, s[26:27]
; %bb.353:                              ;   in Loop: Header=BB12_329 Depth=2
	v_bfe_u32 v4, v12, 16, 1
	v_add3_u32 v4, v12, v4, s71
                                        ; implicit-def: $vgpr12_vgpr13
; %bb.354:                              ;   in Loop: Header=BB12_329 Depth=2
	s_andn2_saveexec_b64 s[26:27], s[26:27]
; %bb.355:                              ;   in Loop: Header=BB12_329 Depth=2
	v_or_b32_e32 v4, 0x10000, v12
	v_cmp_eq_u32_sdwa vcc, v12, v60 src0_sel:WORD_0 src1_sel:DWORD
	v_cndmask_b32_e32 v4, v4, v12, vcc
; %bb.356:                              ;   in Loop: Header=BB12_329 Depth=2
	s_or_b64 exec, exec, s[26:27]
	s_waitcnt vmcnt(0)
	v_lshlrev_b32_e32 v6, 16, v22
	v_lshlrev_b32_e32 v8, 16, v21
	v_pk_add_f32 v[12:13], v[6:7], v[8:9] op_sel_hi:[0,1]
	v_and_b32_e32 v6, 0x7f800000, v12
	v_cmp_ne_u32_e32 vcc, s70, v6
                                        ; implicit-def: $vgpr6
	s_and_saveexec_b64 s[26:27], vcc
	s_xor_b64 s[26:27], exec, s[26:27]
; %bb.357:                              ;   in Loop: Header=BB12_329 Depth=2
	v_bfe_u32 v6, v12, 16, 1
	v_add3_u32 v6, v12, v6, s71
                                        ; implicit-def: $vgpr12_vgpr13
; %bb.358:                              ;   in Loop: Header=BB12_329 Depth=2
	s_andn2_saveexec_b64 s[26:27], s[26:27]
; %bb.359:                              ;   in Loop: Header=BB12_329 Depth=2
	v_or_b32_e32 v6, 0x10000, v12
	v_cmp_eq_u32_sdwa vcc, v12, v60 src0_sel:WORD_0 src1_sel:DWORD
	v_cndmask_b32_e32 v6, v6, v12, vcc
; %bb.360:                              ;   in Loop: Header=BB12_329 Depth=2
	s_or_b64 exec, exec, s[26:27]
	v_and_b32_e32 v8, 0xffff0000, v22
	v_and_b32_e32 v12, 0xffff0000, v21
	v_pk_add_f32 v[12:13], v[8:9], v[12:13] op_sel_hi:[0,1]
	v_and_b32_e32 v7, 0x7f800000, v12
	v_cmp_ne_u32_e32 vcc, s70, v7
                                        ; implicit-def: $vgpr7
	s_and_saveexec_b64 s[26:27], vcc
	s_xor_b64 s[26:27], exec, s[26:27]
; %bb.361:                              ;   in Loop: Header=BB12_329 Depth=2
	v_bfe_u32 v7, v12, 16, 1
	v_add3_u32 v7, v12, v7, s71
                                        ; implicit-def: $vgpr12_vgpr13
; %bb.362:                              ;   in Loop: Header=BB12_329 Depth=2
	s_andn2_saveexec_b64 s[26:27], s[26:27]
; %bb.363:                              ;   in Loop: Header=BB12_329 Depth=2
	v_or_b32_e32 v7, 0x10000, v12
	v_cmp_eq_u32_sdwa vcc, v12, v60 src0_sel:WORD_0 src1_sel:DWORD
	v_cndmask_b32_e32 v7, v7, v12, vcc
; %bb.364:                              ;   in Loop: Header=BB12_329 Depth=2
	s_or_b64 exec, exec, s[26:27]
	v_lshrrev_b32_e32 v8, 16, v24
	v_lshrrev_b32_e32 v5, 16, v5
	v_and_or_b32 v25, v26, s72, v8
	v_lshrrev_b32_e32 v8, 16, v15
	v_and_or_b32 v26, v4, s72, v5
	;; [unrolled: 2-line block ×3, first 2 shown]
	v_and_or_b32 v27, v7, s72, v4
	v_accvgpr_read_b32 v4, a38
	buffer_store_dword v25, off, s[0:3], s33 offset:180
	buffer_store_dword v24, off, s[0:3], s33 offset:176
	;; [unrolled: 1-line block ×4, first 2 shown]
	global_store_dwordx4 v[0:1], v[24:27], off glc slc
	v_add_co_u32_e32 v0, vcc, v4, v0
	v_accvgpr_read_b32 v4, a39
	v_addc_co_u32_e32 v1, vcc, v4, v1, vcc
.LBB12_365:                             ;   in Loop: Header=BB12_329 Depth=2
	s_or_b64 exec, exec, s[24:25]
	v_accvgpr_read_b32 v4, a36
	v_add_co_u32_e32 v2, vcc, v2, v4
	v_accvgpr_read_b32 v5, a37
	v_addc_co_u32_e32 v3, vcc, v3, v5, vcc
	v_add_co_u32_e32 v10, vcc, v10, v4
	v_sub_u32_e32 v14, v14, v29
	v_addc_co_u32_e32 v11, vcc, v11, v5, vcc
	v_cmp_lt_i32_e64 s[56:57], 15, v14
	s_and_saveexec_b64 s[58:59], s[56:57]
	s_cbranch_execz .LBB12_368
; %bb.366:                              ;   in Loop: Header=BB12_329 Depth=2
	v_lshrrev_b32_e64 v4, 6, s33
	v_add_u32_e32 v4, 0xb0, v4
	s_mov_b64 s[62:63], 0
	s_mov_b64 s[60:61], -1
.LBB12_367:                             ;   Parent Loop BB12_49 Depth=1
                                        ;     Parent Loop BB12_329 Depth=2
                                        ; =>    This Inner Loop Header: Depth=3
	s_cmp_eq_u32 s62, 1
	s_cselect_b64 s[24:25], -1, 0
	v_cndmask_b32_e64 v13, v3, v11, s[24:25]
	v_cndmask_b32_e64 v12, v2, v10, s[24:25]
	global_load_dwordx4 v[6:9], v[12:13], off glc slc
	v_add_co_u32_e32 v5, vcc, s67, v12
	s_cmp_eq_u32 s62, 0
	v_addc_co_u32_e32 v12, vcc, 0, v13, vcc
	s_cselect_b64 vcc, -1, 0
	s_and_b64 s[26:27], exec, s[60:61]
	s_mov_b64 s[62:63], 1
	v_cndmask_b32_e64 v10, v10, v5, s[24:25]
	s_mov_b64 s[60:61], 0
	v_cndmask_b32_e32 v3, v3, v12, vcc
	v_cndmask_b32_e32 v2, v2, v5, vcc
	v_cndmask_b32_e64 v11, v11, v12, s[24:25]
	s_mov_b64 vcc, s[26:27]
	s_waitcnt vmcnt(0)
	buffer_store_dword v7, v4, s[0:3], 0 offen offset:4
	buffer_store_dword v6, v4, s[0:3], 0 offen
	buffer_store_dword v9, v4, s[0:3], 0 offen offset:12
	buffer_store_dword v8, v4, s[0:3], 0 offen offset:8
	v_mov_b32_e32 v4, v28
	s_cbranch_vccnz .LBB12_367
.LBB12_368:                             ;   in Loop: Header=BB12_329 Depth=2
	s_or_b64 exec, exec, s[58:59]
	buffer_load_dword v7, off, s[0:3], s33 offset:160
	buffer_load_dword v6, off, s[0:3], s33 offset:144
	;; [unrolled: 1-line block ×8, first 2 shown]
                                        ; implicit-def: $vgpr15
	s_waitcnt vmcnt(7)
	v_lshlrev_b32_e32 v8, 16, v7
	s_waitcnt vmcnt(6)
	v_lshlrev_b32_e32 v12, 16, v6
	v_pk_add_f32 v[12:13], v[8:9], v[12:13] op_sel_hi:[0,1]
	v_and_b32_e32 v8, 0x7f800000, v12
	v_cmp_ne_u32_e32 vcc, s70, v8
	s_and_saveexec_b64 s[24:25], vcc
	s_xor_b64 s[24:25], exec, s[24:25]
; %bb.369:                              ;   in Loop: Header=BB12_329 Depth=2
	v_bfe_u32 v8, v12, 16, 1
	v_add3_u32 v15, v12, v8, s71
                                        ; implicit-def: $vgpr12_vgpr13
; %bb.370:                              ;   in Loop: Header=BB12_329 Depth=2
	s_andn2_saveexec_b64 s[24:25], s[24:25]
; %bb.371:                              ;   in Loop: Header=BB12_329 Depth=2
	v_or_b32_e32 v8, 0x10000, v12
	v_cmp_eq_u32_sdwa vcc, v12, v60 src0_sel:WORD_0 src1_sel:DWORD
	v_cndmask_b32_e32 v15, v8, v12, vcc
; %bb.372:                              ;   in Loop: Header=BB12_329 Depth=2
	s_or_b64 exec, exec, s[24:25]
	v_and_b32_e32 v8, 0xffff0000, v7
	v_and_b32_e32 v6, 0xffff0000, v6
	v_pk_add_f32 v[12:13], v[8:9], v[6:7] op_sel_hi:[0,1]
	v_and_b32_e32 v6, 0x7f800000, v12
	v_cmp_ne_u32_e32 vcc, s70, v6
                                        ; implicit-def: $vgpr23
	s_and_saveexec_b64 s[24:25], vcc
	s_xor_b64 s[24:25], exec, s[24:25]
; %bb.373:                              ;   in Loop: Header=BB12_329 Depth=2
	v_bfe_u32 v6, v12, 16, 1
	v_add3_u32 v23, v12, v6, s71
                                        ; implicit-def: $vgpr12_vgpr13
; %bb.374:                              ;   in Loop: Header=BB12_329 Depth=2
	s_andn2_saveexec_b64 s[24:25], s[24:25]
; %bb.375:                              ;   in Loop: Header=BB12_329 Depth=2
	v_or_b32_e32 v6, 0x10000, v12
	v_cmp_eq_u32_sdwa vcc, v12, v60 src0_sel:WORD_0 src1_sel:DWORD
	v_cndmask_b32_e32 v23, v6, v12, vcc
; %bb.376:                              ;   in Loop: Header=BB12_329 Depth=2
	s_or_b64 exec, exec, s[24:25]
	s_waitcnt vmcnt(2)
	v_lshlrev_b32_e32 v6, 16, v26
	v_lshlrev_b32_e32 v8, 16, v5
	v_pk_add_f32 v[12:13], v[6:7], v[8:9] op_sel_hi:[0,1]
	v_and_b32_e32 v6, 0x7f800000, v12
	v_cmp_ne_u32_e32 vcc, s70, v6
                                        ; implicit-def: $vgpr24
	s_and_saveexec_b64 s[24:25], vcc
	s_xor_b64 s[24:25], exec, s[24:25]
; %bb.377:                              ;   in Loop: Header=BB12_329 Depth=2
	v_bfe_u32 v6, v12, 16, 1
	v_add3_u32 v24, v12, v6, s71
                                        ; implicit-def: $vgpr12_vgpr13
; %bb.378:                              ;   in Loop: Header=BB12_329 Depth=2
	s_andn2_saveexec_b64 s[24:25], s[24:25]
; %bb.379:                              ;   in Loop: Header=BB12_329 Depth=2
	v_or_b32_e32 v6, 0x10000, v12
	v_cmp_eq_u32_sdwa vcc, v12, v60 src0_sel:WORD_0 src1_sel:DWORD
	v_cndmask_b32_e32 v24, v6, v12, vcc
; %bb.380:                              ;   in Loop: Header=BB12_329 Depth=2
	s_or_b64 exec, exec, s[24:25]
	v_and_b32_e32 v6, 0xffff0000, v26
	v_and_b32_e32 v8, 0xffff0000, v5
	v_pk_add_f32 v[12:13], v[6:7], v[8:9] op_sel_hi:[0,1]
	v_and_b32_e32 v5, 0x7f800000, v12
	v_cmp_ne_u32_e32 vcc, s70, v5
                                        ; implicit-def: $vgpr26
	s_and_saveexec_b64 s[24:25], vcc
	s_xor_b64 s[24:25], exec, s[24:25]
; %bb.381:                              ;   in Loop: Header=BB12_329 Depth=2
	v_bfe_u32 v5, v12, 16, 1
	v_add3_u32 v26, v12, v5, s71
                                        ; implicit-def: $vgpr12_vgpr13
; %bb.382:                              ;   in Loop: Header=BB12_329 Depth=2
	s_andn2_saveexec_b64 s[24:25], s[24:25]
; %bb.383:                              ;   in Loop: Header=BB12_329 Depth=2
	v_or_b32_e32 v5, 0x10000, v12
	v_cmp_eq_u32_sdwa vcc, v12, v60 src0_sel:WORD_0 src1_sel:DWORD
	v_cndmask_b32_e32 v26, v5, v12, vcc
; %bb.384:                              ;   in Loop: Header=BB12_329 Depth=2
	s_or_b64 exec, exec, s[24:25]
	s_waitcnt vmcnt(1)
	v_lshlrev_b32_e32 v6, 16, v4
	v_lshlrev_b32_e32 v8, 16, v25
	v_pk_add_f32 v[12:13], v[6:7], v[8:9] op_sel_hi:[0,1]
	v_and_b32_e32 v5, 0x7f800000, v12
	v_cmp_ne_u32_e32 vcc, s70, v5
                                        ; implicit-def: $vgpr5
	s_and_saveexec_b64 s[24:25], vcc
	s_xor_b64 s[24:25], exec, s[24:25]
; %bb.385:                              ;   in Loop: Header=BB12_329 Depth=2
	v_bfe_u32 v5, v12, 16, 1
	v_add3_u32 v5, v12, v5, s71
                                        ; implicit-def: $vgpr12_vgpr13
; %bb.386:                              ;   in Loop: Header=BB12_329 Depth=2
	s_andn2_saveexec_b64 s[24:25], s[24:25]
; %bb.387:                              ;   in Loop: Header=BB12_329 Depth=2
	v_or_b32_e32 v5, 0x10000, v12
	v_cmp_eq_u32_sdwa vcc, v12, v60 src0_sel:WORD_0 src1_sel:DWORD
	v_cndmask_b32_e32 v5, v5, v12, vcc
; %bb.388:                              ;   in Loop: Header=BB12_329 Depth=2
	s_or_b64 exec, exec, s[24:25]
	v_and_b32_e32 v4, 0xffff0000, v4
	v_and_b32_e32 v6, 0xffff0000, v25
	v_pk_add_f32 v[12:13], v[4:5], v[6:7] op_sel_hi:[0,1]
	v_and_b32_e32 v4, 0x7f800000, v12
	v_cmp_ne_u32_e32 vcc, s70, v4
                                        ; implicit-def: $vgpr4
	s_and_saveexec_b64 s[24:25], vcc
	s_xor_b64 s[24:25], exec, s[24:25]
; %bb.389:                              ;   in Loop: Header=BB12_329 Depth=2
	v_bfe_u32 v4, v12, 16, 1
	v_add3_u32 v4, v12, v4, s71
                                        ; implicit-def: $vgpr12_vgpr13
; %bb.390:                              ;   in Loop: Header=BB12_329 Depth=2
	s_andn2_saveexec_b64 s[24:25], s[24:25]
; %bb.391:                              ;   in Loop: Header=BB12_329 Depth=2
	v_or_b32_e32 v4, 0x10000, v12
	v_cmp_eq_u32_sdwa vcc, v12, v60 src0_sel:WORD_0 src1_sel:DWORD
	v_cndmask_b32_e32 v4, v4, v12, vcc
; %bb.392:                              ;   in Loop: Header=BB12_329 Depth=2
	s_or_b64 exec, exec, s[24:25]
	s_waitcnt vmcnt(0)
	v_lshlrev_b32_e32 v6, 16, v22
	v_lshlrev_b32_e32 v8, 16, v21
	v_pk_add_f32 v[12:13], v[6:7], v[8:9] op_sel_hi:[0,1]
	v_and_b32_e32 v6, 0x7f800000, v12
	v_cmp_ne_u32_e32 vcc, s70, v6
                                        ; implicit-def: $vgpr6
	s_and_saveexec_b64 s[24:25], vcc
	s_xor_b64 s[24:25], exec, s[24:25]
; %bb.393:                              ;   in Loop: Header=BB12_329 Depth=2
	v_bfe_u32 v6, v12, 16, 1
	v_add3_u32 v6, v12, v6, s71
                                        ; implicit-def: $vgpr12_vgpr13
; %bb.394:                              ;   in Loop: Header=BB12_329 Depth=2
	s_andn2_saveexec_b64 s[24:25], s[24:25]
; %bb.395:                              ;   in Loop: Header=BB12_329 Depth=2
	v_or_b32_e32 v6, 0x10000, v12
	v_cmp_eq_u32_sdwa vcc, v12, v60 src0_sel:WORD_0 src1_sel:DWORD
	v_cndmask_b32_e32 v6, v6, v12, vcc
; %bb.396:                              ;   in Loop: Header=BB12_329 Depth=2
	s_or_b64 exec, exec, s[24:25]
	v_and_b32_e32 v8, 0xffff0000, v22
	v_and_b32_e32 v12, 0xffff0000, v21
	v_pk_add_f32 v[12:13], v[8:9], v[12:13] op_sel_hi:[0,1]
	v_and_b32_e32 v7, 0x7f800000, v12
	v_cmp_ne_u32_e32 vcc, s70, v7
                                        ; implicit-def: $vgpr7
	s_and_saveexec_b64 s[24:25], vcc
	s_xor_b64 s[24:25], exec, s[24:25]
; %bb.397:                              ;   in Loop: Header=BB12_329 Depth=2
	v_bfe_u32 v7, v12, 16, 1
	v_add3_u32 v7, v12, v7, s71
                                        ; implicit-def: $vgpr12_vgpr13
; %bb.398:                              ;   in Loop: Header=BB12_329 Depth=2
	s_andn2_saveexec_b64 s[24:25], s[24:25]
; %bb.399:                              ;   in Loop: Header=BB12_329 Depth=2
	v_or_b32_e32 v7, 0x10000, v12
	v_cmp_eq_u32_sdwa vcc, v12, v60 src0_sel:WORD_0 src1_sel:DWORD
	v_cndmask_b32_e32 v7, v7, v12, vcc
; %bb.400:                              ;   in Loop: Header=BB12_329 Depth=2
	s_or_b64 exec, exec, s[24:25]
	v_lshrrev_b32_e32 v8, 16, v24
	v_lshrrev_b32_e32 v5, 16, v5
	v_and_or_b32 v25, v26, s72, v8
	v_lshrrev_b32_e32 v8, 16, v15
	v_and_or_b32 v26, v4, s72, v5
	;; [unrolled: 2-line block ×3, first 2 shown]
	v_and_or_b32 v27, v7, s72, v4
	buffer_store_dword v25, off, s[0:3], s33 offset:148
	buffer_store_dword v24, off, s[0:3], s33 offset:144
	;; [unrolled: 1-line block ×4, first 2 shown]
	global_store_dwordx4 v[0:1], v[24:27], off glc slc
	v_add_co_u32_e32 v0, vcc, 0x400, v0
	v_sub_u32_e32 v20, v20, v42
	v_addc_co_u32_e32 v1, vcc, 0, v1, vcc
	s_and_saveexec_b64 s[24:25], s[56:57]
	s_cbranch_execz .LBB12_328
; %bb.401:                              ;   in Loop: Header=BB12_329 Depth=2
	v_accvgpr_read_b32 v4, a36
	v_add_co_u32_e32 v2, vcc, v2, v4
	v_accvgpr_read_b32 v5, a37
	v_addc_co_u32_e32 v3, vcc, v3, v5, vcc
	v_add_co_u32_e32 v10, vcc, v10, v4
	v_addc_co_u32_e32 v11, vcc, v11, v5, vcc
	v_add_co_u32_e32 v0, vcc, v0, v4
	v_addc_co_u32_e32 v1, vcc, v1, v5, vcc
	v_sub_u32_e32 v14, v14, v29
	v_sub_u32_e32 v20, v20, v42
	s_branch .LBB12_328
.LBB12_402:                             ;   in Loop: Header=BB12_49 Depth=1
	s_or_b64 exec, exec, s[52:53]
	s_and_b64 s[26:27], s[54:55], exec
.LBB12_403:                             ;   in Loop: Header=BB12_49 Depth=1
	s_or_b64 exec, exec, s[50:51]
	s_and_saveexec_b64 s[24:25], s[26:27]
	s_cbranch_execz .LBB12_437
; %bb.404:                              ;   in Loop: Header=BB12_49 Depth=1
	buffer_load_dword v7, off, s[0:3], s33 offset:192
	buffer_load_dword v6, off, s[0:3], s33 offset:176
	;; [unrolled: 1-line block ×8, first 2 shown]
                                        ; implicit-def: $vgpr10
	s_waitcnt vmcnt(0)
	v_lshlrev_b32_e32 v2, 16, v7
	v_lshlrev_b32_e32 v8, 16, v6
	v_pk_add_f32 v[2:3], v[2:3], v[8:9] op_sel_hi:[0,1]
	v_and_b32_e32 v3, 0x7f800000, v2
	v_cmp_ne_u32_e32 vcc, s70, v3
	s_and_saveexec_b64 s[26:27], vcc
	s_xor_b64 s[26:27], exec, s[26:27]
; %bb.405:                              ;   in Loop: Header=BB12_49 Depth=1
	v_bfe_u32 v3, v2, 16, 1
	v_add3_u32 v10, v2, v3, s71
                                        ; implicit-def: $vgpr2_vgpr3
; %bb.406:                              ;   in Loop: Header=BB12_49 Depth=1
	s_andn2_saveexec_b64 s[26:27], s[26:27]
; %bb.407:                              ;   in Loop: Header=BB12_49 Depth=1
	v_or_b32_e32 v3, 0x10000, v2
	v_cmp_eq_u32_sdwa vcc, v2, v60 src0_sel:WORD_0 src1_sel:DWORD
	v_cndmask_b32_e32 v10, v3, v2, vcc
; %bb.408:                              ;   in Loop: Header=BB12_49 Depth=1
	s_or_b64 exec, exec, s[26:27]
	v_and_b32_e32 v2, 0xffff0000, v7
	v_and_b32_e32 v6, 0xffff0000, v6
	v_pk_add_f32 v[2:3], v[2:3], v[6:7] op_sel_hi:[0,1]
	v_and_b32_e32 v3, 0x7f800000, v2
	v_cmp_ne_u32_e32 vcc, s70, v3
                                        ; implicit-def: $vgpr13
	s_and_saveexec_b64 s[26:27], vcc
	s_xor_b64 s[26:27], exec, s[26:27]
; %bb.409:                              ;   in Loop: Header=BB12_49 Depth=1
	v_bfe_u32 v3, v2, 16, 1
	v_add3_u32 v13, v2, v3, s71
                                        ; implicit-def: $vgpr2_vgpr3
; %bb.410:                              ;   in Loop: Header=BB12_49 Depth=1
	s_andn2_saveexec_b64 s[26:27], s[26:27]
; %bb.411:                              ;   in Loop: Header=BB12_49 Depth=1
	v_or_b32_e32 v3, 0x10000, v2
	v_cmp_eq_u32_sdwa vcc, v2, v60 src0_sel:WORD_0 src1_sel:DWORD
	v_cndmask_b32_e32 v13, v3, v2, vcc
; %bb.412:                              ;   in Loop: Header=BB12_49 Depth=1
	s_or_b64 exec, exec, s[26:27]
	v_lshlrev_b32_e32 v2, 16, v21
	v_lshlrev_b32_e32 v6, 16, v5
	v_pk_add_f32 v[2:3], v[2:3], v[6:7] op_sel_hi:[0,1]
	v_and_b32_e32 v3, 0x7f800000, v2
	v_cmp_ne_u32_e32 vcc, s70, v3
                                        ; implicit-def: $vgpr14
	s_and_saveexec_b64 s[26:27], vcc
	s_xor_b64 s[26:27], exec, s[26:27]
; %bb.413:                              ;   in Loop: Header=BB12_49 Depth=1
	v_bfe_u32 v3, v2, 16, 1
	v_add3_u32 v14, v2, v3, s71
                                        ; implicit-def: $vgpr2_vgpr3
; %bb.414:                              ;   in Loop: Header=BB12_49 Depth=1
	s_andn2_saveexec_b64 s[26:27], s[26:27]
; %bb.415:                              ;   in Loop: Header=BB12_49 Depth=1
	v_or_b32_e32 v3, 0x10000, v2
	v_cmp_eq_u32_sdwa vcc, v2, v60 src0_sel:WORD_0 src1_sel:DWORD
	v_cndmask_b32_e32 v14, v3, v2, vcc
; %bb.416:                              ;   in Loop: Header=BB12_49 Depth=1
	s_or_b64 exec, exec, s[26:27]
	v_and_b32_e32 v2, 0xffff0000, v21
	v_and_b32_e32 v6, 0xffff0000, v5
	v_pk_add_f32 v[2:3], v[2:3], v[6:7] op_sel_hi:[0,1]
	v_and_b32_e32 v3, 0x7f800000, v2
	v_cmp_ne_u32_e32 vcc, s70, v3
                                        ; implicit-def: $vgpr21
	s_and_saveexec_b64 s[26:27], vcc
	s_xor_b64 s[26:27], exec, s[26:27]
; %bb.417:                              ;   in Loop: Header=BB12_49 Depth=1
	v_bfe_u32 v3, v2, 16, 1
	v_add3_u32 v21, v2, v3, s71
                                        ; implicit-def: $vgpr2_vgpr3
; %bb.418:                              ;   in Loop: Header=BB12_49 Depth=1
	s_andn2_saveexec_b64 s[26:27], s[26:27]
; %bb.419:                              ;   in Loop: Header=BB12_49 Depth=1
	v_or_b32_e32 v3, 0x10000, v2
	v_cmp_eq_u32_sdwa vcc, v2, v60 src0_sel:WORD_0 src1_sel:DWORD
	v_cndmask_b32_e32 v21, v3, v2, vcc
; %bb.420:                              ;   in Loop: Header=BB12_49 Depth=1
	s_or_b64 exec, exec, s[26:27]
	v_lshlrev_b32_e32 v2, 16, v4
	v_lshlrev_b32_e32 v6, 16, v15
	v_pk_add_f32 v[2:3], v[2:3], v[6:7] op_sel_hi:[0,1]
	v_and_b32_e32 v3, 0x7f800000, v2
	v_cmp_ne_u32_e32 vcc, s70, v3
                                        ; implicit-def: $vgpr5
	s_and_saveexec_b64 s[26:27], vcc
	s_xor_b64 s[26:27], exec, s[26:27]
; %bb.421:                              ;   in Loop: Header=BB12_49 Depth=1
	v_bfe_u32 v3, v2, 16, 1
	v_add3_u32 v5, v2, v3, s71
                                        ; implicit-def: $vgpr2_vgpr3
; %bb.422:                              ;   in Loop: Header=BB12_49 Depth=1
	s_andn2_saveexec_b64 s[26:27], s[26:27]
; %bb.423:                              ;   in Loop: Header=BB12_49 Depth=1
	v_or_b32_e32 v3, 0x10000, v2
	v_cmp_eq_u32_sdwa vcc, v2, v60 src0_sel:WORD_0 src1_sel:DWORD
	v_cndmask_b32_e32 v5, v3, v2, vcc
; %bb.424:                              ;   in Loop: Header=BB12_49 Depth=1
	s_or_b64 exec, exec, s[26:27]
	v_and_b32_e32 v2, 0xffff0000, v4
	v_and_b32_e32 v4, 0xffff0000, v15
	v_pk_add_f32 v[2:3], v[2:3], v[4:5] op_sel_hi:[0,1]
	v_and_b32_e32 v3, 0x7f800000, v2
	v_cmp_ne_u32_e32 vcc, s70, v3
                                        ; implicit-def: $vgpr4
	s_and_saveexec_b64 s[26:27], vcc
	s_xor_b64 s[26:27], exec, s[26:27]
; %bb.425:                              ;   in Loop: Header=BB12_49 Depth=1
	v_bfe_u32 v3, v2, 16, 1
	v_add3_u32 v4, v2, v3, s71
                                        ; implicit-def: $vgpr2_vgpr3
; %bb.426:                              ;   in Loop: Header=BB12_49 Depth=1
	s_andn2_saveexec_b64 s[26:27], s[26:27]
; %bb.427:                              ;   in Loop: Header=BB12_49 Depth=1
	v_or_b32_e32 v3, 0x10000, v2
	v_cmp_eq_u32_sdwa vcc, v2, v60 src0_sel:WORD_0 src1_sel:DWORD
	v_cndmask_b32_e32 v4, v3, v2, vcc
; %bb.428:                              ;   in Loop: Header=BB12_49 Depth=1
	s_or_b64 exec, exec, s[26:27]
	v_lshlrev_b32_e32 v2, 16, v12
	v_lshlrev_b32_e32 v6, 16, v11
	v_pk_add_f32 v[2:3], v[2:3], v[6:7] op_sel_hi:[0,1]
	v_and_b32_e32 v3, 0x7f800000, v2
	v_cmp_ne_u32_e32 vcc, s70, v3
                                        ; implicit-def: $vgpr6
	s_and_saveexec_b64 s[26:27], vcc
	s_xor_b64 s[26:27], exec, s[26:27]
; %bb.429:                              ;   in Loop: Header=BB12_49 Depth=1
	v_bfe_u32 v3, v2, 16, 1
	v_add3_u32 v6, v2, v3, s71
                                        ; implicit-def: $vgpr2_vgpr3
; %bb.430:                              ;   in Loop: Header=BB12_49 Depth=1
	s_andn2_saveexec_b64 s[26:27], s[26:27]
; %bb.431:                              ;   in Loop: Header=BB12_49 Depth=1
	v_or_b32_e32 v3, 0x10000, v2
	v_cmp_eq_u32_sdwa vcc, v2, v60 src0_sel:WORD_0 src1_sel:DWORD
	v_cndmask_b32_e32 v6, v3, v2, vcc
; %bb.432:                              ;   in Loop: Header=BB12_49 Depth=1
	s_or_b64 exec, exec, s[26:27]
	v_and_b32_e32 v2, 0xffff0000, v12
	v_and_b32_e32 v8, 0xffff0000, v11
	v_pk_add_f32 v[2:3], v[2:3], v[8:9] op_sel_hi:[0,1]
	v_and_b32_e32 v3, 0x7f800000, v2
	v_cmp_ne_u32_e32 vcc, s70, v3
                                        ; implicit-def: $vgpr7
	s_and_saveexec_b64 s[26:27], vcc
	s_xor_b64 s[26:27], exec, s[26:27]
; %bb.433:                              ;   in Loop: Header=BB12_49 Depth=1
	v_bfe_u32 v3, v2, 16, 1
	v_add3_u32 v7, v2, v3, s71
                                        ; implicit-def: $vgpr2_vgpr3
; %bb.434:                              ;   in Loop: Header=BB12_49 Depth=1
	s_andn2_saveexec_b64 s[26:27], s[26:27]
; %bb.435:                              ;   in Loop: Header=BB12_49 Depth=1
	v_or_b32_e32 v3, 0x10000, v2
	v_cmp_eq_u32_sdwa vcc, v2, v60 src0_sel:WORD_0 src1_sel:DWORD
	v_cndmask_b32_e32 v7, v3, v2, vcc
; %bb.436:                              ;   in Loop: Header=BB12_49 Depth=1
	s_or_b64 exec, exec, s[26:27]
	v_lshrrev_b32_e32 v2, 16, v14
	v_lshrrev_b32_e32 v5, 16, v5
	v_and_or_b32 v3, v21, s72, v2
	v_lshrrev_b32_e32 v2, 16, v10
	v_and_or_b32 v4, v4, s72, v5
	;; [unrolled: 2-line block ×3, first 2 shown]
	v_and_or_b32 v5, v7, s72, v5
	global_store_dwordx4 v[0:1], v[2:5], off glc slc
.LBB12_437:                             ;   in Loop: Header=BB12_49 Depth=1
	s_or_b64 exec, exec, s[24:25]
	v_and_b32_e32 v1, 14, v33
	v_cndmask_b32_e64 v33, v19, v1, s[22:23]
	v_cmp_ne_u32_e32 vcc, 0, v33
	s_mov_b64 s[24:25], 0
	v_mov_b32_e32 v14, 0
                                        ; implicit-def: $vgpr15
                                        ; implicit-def: $vgpr0
                                        ; implicit-def: $agpr50_agpr51
	s_and_saveexec_b64 s[26:27], vcc
	s_cbranch_execz .LBB12_439
; %bb.438:                              ;   in Loop: Header=BB12_49 Depth=1
	v_sub_u32_e32 v0, v19, v1
	v_cndmask_b32_e64 v0, 0, v0, s[22:23]
	v_cmp_lt_i32_e32 vcc, 0, v20
	v_add3_u32 v14, v18, v16, v0
	v_cndmask_b32_e32 v0, 0, v42, vcc
	v_sub_u32_e32 v0, v0, v20
	v_lshl_add_u32 v1, v0, 6, v17
	v_ashrrev_i32_e32 v0, 31, v1
	v_lshrrev_b32_e32 v0, 26, v0
	s_trap 2
	ds_read_b64 a[50:51], v0
	v_add_u32_e32 v2, v1, v0
	v_ashrrev_i32_e32 v0, 6, v2
	v_and_b32_e32 v2, 0xffffffc0, v2
	s_mov_b64 s[24:25], exec
	v_sub_u32_e32 v15, v1, v2
.LBB12_439:                             ;   in Loop: Header=BB12_49 Depth=1
	s_or_b64 exec, exec, s[26:27]
	s_and_b64 s[22:23], s[24:25], exec
.LBB12_440:                             ;   in Loop: Header=BB12_49 Depth=1
	s_or_b64 exec, exec, s[48:49]
	v_accvgpr_read_b32 v25, a5
	v_accvgpr_read_b32 v51, a15
	;; [unrolled: 1-line block ×15, first 2 shown]
	v_mov_b32_e32 v38, 1
	v_mov_b32_e32 v39, 0x80
	v_accvgpr_read_b32 v55, a45
	s_and_saveexec_b64 s[26:27], s[22:23]
	s_cbranch_execz .LBB12_573
.LBB12_441:                             ;   in Loop: Header=BB12_49 Depth=1
	v_lshlrev_b32_e32 v1, 10, v0
	v_lshlrev_b32_e32 v2, 1, v15
	v_add3_u32 v10, v14, v2, v1
	v_ashrrev_i32_e32 v1, 31, v33
	v_lshrrev_b32_e32 v1, 22, v1
	v_add_u32_e32 v1, v33, v1
	v_ashrrev_i32_e32 v16, 10, v1
	v_sub_u32_e32 v12, v16, v0
	s_waitcnt lgkmcnt(0)
	v_accvgpr_read_b32 v0, a50
	v_ashrrev_i32_e32 v11, 31, v10
	v_accvgpr_read_b32 v1, a51
	v_add_co_u32_e32 v0, vcc, v0, v10
	v_addc_co_u32_e32 v1, vcc, v1, v11, vcc
	v_mov_b32_e32 v59, v31
	v_mov_b32_e32 v40, v30
	;; [unrolled: 1-line block ×3, first 2 shown]
	v_cmp_lt_i32_e32 vcc, 0, v12
	s_mov_b64 s[24:25], 0
	v_mov_b32_e32 v34, 0
	v_mov_b32_e32 v31, 0
	;; [unrolled: 1-line block ×16, first 2 shown]
	s_and_saveexec_b64 s[22:23], vcc
	s_cbranch_execz .LBB12_513
; %bb.442:                              ;   in Loop: Header=BB12_49 Depth=1
	s_trap 2
	ds_read_b128 v[2:5], v0
	v_accvgpr_write_b32 a22, v26
	v_accvgpr_write_b32 a12, v48
	v_mov_b32_e32 v41, v55
	v_accvgpr_write_b32 a23, v27
	s_waitcnt lgkmcnt(0)
	v_add_co_u32_e32 v2, vcc, v2, v10
	v_addc_co_u32_e32 v3, vcc, v3, v11, vcc
	v_add_co_u32_e32 v10, vcc, v4, v10
	v_accvgpr_write_b32 a13, v49
	v_accvgpr_write_b32 a14, v50
	;; [unrolled: 1-line block ×3, first 2 shown]
	v_addc_co_u32_e32 v11, vcc, v5, v11, vcc
	s_mov_b64 s[50:51], 0
	s_mov_b64 s[48:49], 0
                                        ; implicit-def: $sgpr24_sgpr25
                                        ; implicit-def: $vgpr49
                                        ; implicit-def: $vgpr38
                                        ; implicit-def: $vgpr35
                                        ; implicit-def: $vgpr32
                                        ; implicit-def: $vgpr29
                                        ; implicit-def: $vgpr27
                                        ; implicit-def: $vgpr26
                                        ; implicit-def: $vgpr25
                                        ; implicit-def: $vgpr17
                                        ; implicit-def: $vgpr18
                                        ; implicit-def: $vgpr19
                                        ; implicit-def: $vgpr20
                                        ; implicit-def: $vgpr21
                                        ; implicit-def: $vgpr22
                                        ; implicit-def: $vgpr23
                                        ; implicit-def: $vgpr24
	s_branch .LBB12_444
.LBB12_443:                             ;   in Loop: Header=BB12_444 Depth=2
	s_or_b64 exec, exec, s[52:53]
	flat_store_short_d16_hi v[0:1], v55 glc slc
	flat_store_short_d16_hi v[0:1], v53 offset:128 glc slc
	flat_store_short_d16_hi v[0:1], v51 offset:256 glc slc
	;; [unrolled: 1-line block ×7, first 2 shown]
	v_accvgpr_read_b32 v6, a36
	v_add_co_u32_e32 v4, vcc, v2, v6
	v_accvgpr_read_b32 v7, a37
	v_addc_co_u32_e32 v5, vcc, v3, v7, vcc
	v_add_co_u32_e32 v6, vcc, v10, v6
	v_accvgpr_read_b32 v9, a38
	v_mov_b32_e32 v12, 0x400
	v_addc_co_u32_e32 v7, vcc, v11, v7, vcc
	v_accvgpr_read_b32 v8, a39
	v_cndmask_b32_e64 v9, v12, v9, s[50:51]
	v_cndmask_b32_e64 v8, 0, v8, s[50:51]
	v_add_co_u32_e32 v0, vcc, v0, v9
	v_cndmask_b32_e64 v2, v2, v4, s[50:51]
	v_cndmask_b32_e64 v4, 0, v42, s[50:51]
	v_addc_co_u32_e32 v1, vcc, v1, v8, vcc
	v_sub_u32_e32 v12, v58, v4
	v_cmp_gt_i32_e32 vcc, 1, v12
	s_or_b64 s[48:49], vcc, s[48:49]
	s_andn2_b64 s[24:25], s[24:25], exec
	s_and_b64 vcc, s[50:51], exec
	v_cndmask_b32_e64 v3, v3, v5, s[50:51]
	v_cndmask_b32_e64 v11, v11, v7, s[50:51]
	;; [unrolled: 1-line block ×3, first 2 shown]
	s_or_b64 s[24:25], s[24:25], vcc
	s_andn2_b64 exec, exec, s[48:49]
	s_cbranch_execz .LBB12_512
.LBB12_444:                             ;   Parent Loop BB12_49 Depth=1
                                        ; =>  This Inner Loop Header: Depth=2
	flat_load_ushort v13, v[2:3] glc slc
	flat_load_ushort v53, v[2:3] offset:128 glc slc
	flat_load_ushort v51, v[2:3] offset:256 glc slc
	;; [unrolled: 1-line block ×7, first 2 shown]
	flat_load_ushort v45, v[10:11] glc slc
	flat_load_ushort v44, v[10:11] offset:128 glc slc
	flat_load_ushort v52, v[10:11] offset:256 glc slc
	flat_load_ushort v50, v[10:11] offset:384 glc slc
	flat_load_ushort v39, v[10:11] offset:512 glc slc
	flat_load_ushort v36, v[10:11] offset:640 glc slc
	flat_load_ushort v33, v[10:11] offset:768 glc slc
	flat_load_ushort v30, v[10:11] offset:896 glc slc
	s_and_saveexec_b64 s[52:53], s[50:51]
	s_cbranch_execz .LBB12_478
; %bb.445:                              ;   in Loop: Header=BB12_444 Depth=2
	v_lshlrev_b32_e32 v4, 16, v49
	v_lshlrev_b32_e32 v5, 16, v17
	v_add_f32_e32 v4, v4, v5
	v_and_b32_e32 v5, 0x7f800000, v4
	v_cmp_ne_u32_e32 vcc, s70, v5
                                        ; implicit-def: $vgpr49
	s_and_saveexec_b64 s[50:51], vcc
	s_xor_b64 vcc, exec, s[50:51]
; %bb.446:                              ;   in Loop: Header=BB12_444 Depth=2
	v_bfe_u32 v5, v4, 16, 1
	v_add3_u32 v49, v4, v5, s71
                                        ; implicit-def: $vgpr4
; %bb.447:                              ;   in Loop: Header=BB12_444 Depth=2
	s_andn2_saveexec_b64 s[50:51], vcc
; %bb.448:                              ;   in Loop: Header=BB12_444 Depth=2
	v_or_b32_e32 v5, 0x10000, v4
	v_cmp_eq_u32_sdwa vcc, v4, v60 src0_sel:WORD_0 src1_sel:DWORD
	v_cndmask_b32_e32 v49, v5, v4, vcc
; %bb.449:                              ;   in Loop: Header=BB12_444 Depth=2
	s_or_b64 exec, exec, s[50:51]
	v_lshlrev_b32_e32 v4, 16, v38
	v_lshlrev_b32_e32 v5, 16, v18
	v_add_f32_e32 v4, v4, v5
	v_and_b32_e32 v5, 0x7f800000, v4
	v_cmp_ne_u32_e32 vcc, s70, v5
                                        ; implicit-def: $vgpr38
	s_and_saveexec_b64 s[50:51], vcc
	s_xor_b64 vcc, exec, s[50:51]
; %bb.450:                              ;   in Loop: Header=BB12_444 Depth=2
	v_bfe_u32 v5, v4, 16, 1
	v_add3_u32 v38, v4, v5, s71
                                        ; implicit-def: $vgpr4
; %bb.451:                              ;   in Loop: Header=BB12_444 Depth=2
	s_andn2_saveexec_b64 s[50:51], vcc
; %bb.452:                              ;   in Loop: Header=BB12_444 Depth=2
	v_or_b32_e32 v5, 0x10000, v4
	v_cmp_eq_u32_sdwa vcc, v4, v60 src0_sel:WORD_0 src1_sel:DWORD
	v_cndmask_b32_e32 v38, v5, v4, vcc
; %bb.453:                              ;   in Loop: Header=BB12_444 Depth=2
	s_or_b64 exec, exec, s[50:51]
	v_lshlrev_b32_e32 v4, 16, v35
	v_lshlrev_b32_e32 v5, 16, v19
	v_add_f32_e32 v4, v4, v5
	v_and_b32_e32 v5, 0x7f800000, v4
	v_cmp_ne_u32_e32 vcc, s70, v5
                                        ; implicit-def: $vgpr35
	s_and_saveexec_b64 s[50:51], vcc
	s_xor_b64 vcc, exec, s[50:51]
; %bb.454:                              ;   in Loop: Header=BB12_444 Depth=2
	v_bfe_u32 v5, v4, 16, 1
	v_add3_u32 v35, v4, v5, s71
                                        ; implicit-def: $vgpr4
; %bb.455:                              ;   in Loop: Header=BB12_444 Depth=2
	s_andn2_saveexec_b64 s[50:51], vcc
; %bb.456:                              ;   in Loop: Header=BB12_444 Depth=2
	v_or_b32_e32 v5, 0x10000, v4
	v_cmp_eq_u32_sdwa vcc, v4, v60 src0_sel:WORD_0 src1_sel:DWORD
	v_cndmask_b32_e32 v35, v5, v4, vcc
; %bb.457:                              ;   in Loop: Header=BB12_444 Depth=2
	s_or_b64 exec, exec, s[50:51]
	v_lshlrev_b32_e32 v4, 16, v32
	v_lshlrev_b32_e32 v5, 16, v20
	v_add_f32_e32 v5, v4, v5
	v_and_b32_e32 v4, 0x7f800000, v5
	v_cmp_ne_u32_e32 vcc, s70, v4
                                        ; implicit-def: $vgpr4
	s_and_saveexec_b64 s[50:51], vcc
	s_xor_b64 vcc, exec, s[50:51]
; %bb.458:                              ;   in Loop: Header=BB12_444 Depth=2
	v_bfe_u32 v4, v5, 16, 1
	v_add3_u32 v4, v5, v4, s71
                                        ; implicit-def: $vgpr5
; %bb.459:                              ;   in Loop: Header=BB12_444 Depth=2
	s_andn2_saveexec_b64 s[50:51], vcc
; %bb.460:                              ;   in Loop: Header=BB12_444 Depth=2
	v_or_b32_e32 v4, 0x10000, v5
	v_cmp_eq_u32_sdwa vcc, v5, v60 src0_sel:WORD_0 src1_sel:DWORD
	v_cndmask_b32_e32 v4, v4, v5, vcc
; %bb.461:                              ;   in Loop: Header=BB12_444 Depth=2
	s_or_b64 exec, exec, s[50:51]
	v_lshlrev_b32_e32 v5, 16, v29
	v_lshlrev_b32_e32 v6, 16, v21
	v_add_f32_e32 v6, v5, v6
	v_and_b32_e32 v5, 0x7f800000, v6
	v_cmp_ne_u32_e32 vcc, s70, v5
                                        ; implicit-def: $vgpr5
	s_and_saveexec_b64 s[50:51], vcc
	s_xor_b64 vcc, exec, s[50:51]
; %bb.462:                              ;   in Loop: Header=BB12_444 Depth=2
	v_bfe_u32 v5, v6, 16, 1
	v_add3_u32 v5, v6, v5, s71
                                        ; implicit-def: $vgpr6
; %bb.463:                              ;   in Loop: Header=BB12_444 Depth=2
	s_andn2_saveexec_b64 s[50:51], vcc
; %bb.464:                              ;   in Loop: Header=BB12_444 Depth=2
	v_or_b32_e32 v5, 0x10000, v6
	v_cmp_eq_u32_sdwa vcc, v6, v60 src0_sel:WORD_0 src1_sel:DWORD
	v_cndmask_b32_e32 v5, v5, v6, vcc
; %bb.465:                              ;   in Loop: Header=BB12_444 Depth=2
	s_or_b64 exec, exec, s[50:51]
	v_lshlrev_b32_e32 v6, 16, v27
	v_lshlrev_b32_e32 v7, 16, v22
	v_add_f32_e32 v6, v6, v7
	v_and_b32_e32 v7, 0x7f800000, v6
	v_cmp_ne_u32_e32 vcc, s70, v7
                                        ; implicit-def: $vgpr27
	s_and_saveexec_b64 s[50:51], vcc
	s_xor_b64 vcc, exec, s[50:51]
; %bb.466:                              ;   in Loop: Header=BB12_444 Depth=2
	v_bfe_u32 v7, v6, 16, 1
	v_add3_u32 v27, v6, v7, s71
                                        ; implicit-def: $vgpr6
; %bb.467:                              ;   in Loop: Header=BB12_444 Depth=2
	s_andn2_saveexec_b64 s[50:51], vcc
; %bb.468:                              ;   in Loop: Header=BB12_444 Depth=2
	v_or_b32_e32 v7, 0x10000, v6
	v_cmp_eq_u32_sdwa vcc, v6, v60 src0_sel:WORD_0 src1_sel:DWORD
	v_cndmask_b32_e32 v27, v7, v6, vcc
; %bb.469:                              ;   in Loop: Header=BB12_444 Depth=2
	s_or_b64 exec, exec, s[50:51]
	v_lshlrev_b32_e32 v6, 16, v26
	v_lshlrev_b32_e32 v7, 16, v23
	v_add_f32_e32 v7, v6, v7
	v_and_b32_e32 v6, 0x7f800000, v7
	v_cmp_ne_u32_e32 vcc, s70, v6
                                        ; implicit-def: $vgpr6
	s_and_saveexec_b64 s[50:51], vcc
	s_xor_b64 vcc, exec, s[50:51]
; %bb.470:                              ;   in Loop: Header=BB12_444 Depth=2
	v_bfe_u32 v6, v7, 16, 1
	v_add3_u32 v6, v7, v6, s71
                                        ; implicit-def: $vgpr7
; %bb.471:                              ;   in Loop: Header=BB12_444 Depth=2
	s_andn2_saveexec_b64 s[50:51], vcc
; %bb.472:                              ;   in Loop: Header=BB12_444 Depth=2
	v_or_b32_e32 v6, 0x10000, v7
	v_cmp_eq_u32_sdwa vcc, v7, v60 src0_sel:WORD_0 src1_sel:DWORD
	v_cndmask_b32_e32 v6, v6, v7, vcc
; %bb.473:                              ;   in Loop: Header=BB12_444 Depth=2
	s_or_b64 exec, exec, s[50:51]
	v_lshlrev_b32_e32 v7, 16, v25
	v_lshlrev_b32_e32 v8, 16, v24
	v_add_f32_e32 v8, v7, v8
	v_and_b32_e32 v7, 0x7f800000, v8
	v_cmp_ne_u32_e32 vcc, s70, v7
                                        ; implicit-def: $vgpr7
	s_and_saveexec_b64 s[50:51], vcc
	s_xor_b64 vcc, exec, s[50:51]
; %bb.474:                              ;   in Loop: Header=BB12_444 Depth=2
	v_bfe_u32 v7, v8, 16, 1
	v_add3_u32 v7, v8, v7, s71
                                        ; implicit-def: $vgpr8
; %bb.475:                              ;   in Loop: Header=BB12_444 Depth=2
	s_andn2_saveexec_b64 s[50:51], vcc
; %bb.476:                              ;   in Loop: Header=BB12_444 Depth=2
	v_or_b32_e32 v7, 0x10000, v8
	v_cmp_eq_u32_sdwa vcc, v8, v60 src0_sel:WORD_0 src1_sel:DWORD
	v_cndmask_b32_e32 v7, v7, v8, vcc
; %bb.477:                              ;   in Loop: Header=BB12_444 Depth=2
	s_or_b64 exec, exec, s[50:51]
	v_lshrrev_b32_e32 v32, 16, v4
	v_lshrrev_b32_e32 v49, 16, v49
	v_accvgpr_read_b32 v4, a38
	v_lshrrev_b32_e32 v26, 16, v6
	v_lshrrev_b32_e32 v27, 16, v27
	;; [unrolled: 1-line block ×6, first 2 shown]
	flat_store_short v[0:1], v49 glc slc
	flat_store_short v[0:1], v38 offset:128 glc slc
	flat_store_short v[0:1], v35 offset:256 glc slc
	flat_store_short v[0:1], v32 offset:384 glc slc
	flat_store_short v[0:1], v29 offset:512 glc slc
	flat_store_short v[0:1], v27 offset:640 glc slc
	flat_store_short v[0:1], v26 offset:768 glc slc
	flat_store_short v[0:1], v25 offset:896 glc slc
	v_add_co_u32_e32 v0, vcc, v0, v4
	v_accvgpr_read_b32 v4, a39
	v_addc_co_u32_e32 v1, vcc, v1, v4, vcc
.LBB12_478:                             ;   in Loop: Header=BB12_444 Depth=2
	s_or_b64 exec, exec, s[52:53]
	v_accvgpr_read_b32 v4, a38
	v_add_co_u32_e32 v2, vcc, v2, v4
	v_accvgpr_read_b32 v5, a39
	v_addc_co_u32_e32 v3, vcc, v3, v5, vcc
	v_add_co_u32_e32 v10, vcc, v10, v4
	v_sub_u32_e32 v58, v12, v42
	v_addc_co_u32_e32 v11, vcc, v11, v5, vcc
	v_cmp_lt_i32_e64 s[50:51], 0, v58
	s_and_saveexec_b64 s[52:53], s[50:51]
	s_cbranch_execz .LBB12_480
; %bb.479:                              ;   in Loop: Header=BB12_444 Depth=2
	flat_load_ushort v49, v[2:3] glc slc
	flat_load_ushort v38, v[2:3] offset:128 glc slc
	flat_load_ushort v35, v[2:3] offset:256 glc slc
	;; [unrolled: 1-line block ×7, first 2 shown]
	flat_load_ushort v17, v[10:11] glc slc
	flat_load_ushort v18, v[10:11] offset:128 glc slc
	flat_load_ushort v19, v[10:11] offset:256 glc slc
	;; [unrolled: 1-line block ×7, first 2 shown]
	v_add_co_u32_e32 v2, vcc, 0x400, v2
	v_addc_co_u32_e32 v3, vcc, 0, v3, vcc
	v_add_co_u32_e32 v10, vcc, 0x400, v10
	v_addc_co_u32_e32 v11, vcc, 0, v11, vcc
.LBB12_480:                             ;   in Loop: Header=BB12_444 Depth=2
	s_or_b64 exec, exec, s[52:53]
	s_waitcnt vmcnt(0) lgkmcnt(0)
	v_lshlrev_b32_e32 v4, 16, v45
	v_lshlrev_b32_e32 v6, 16, v13
	v_pk_add_f32 v[12:13], v[4:5], v[6:7] op_sel_hi:[0,1]
	v_and_b32_e32 v4, 0x7f800000, v12
	v_cmp_ne_u32_e32 vcc, s70, v4
                                        ; implicit-def: $vgpr55
	s_and_saveexec_b64 s[52:53], vcc
	s_xor_b64 vcc, exec, s[52:53]
; %bb.481:                              ;   in Loop: Header=BB12_444 Depth=2
	v_bfe_u32 v4, v12, 16, 1
	v_add3_u32 v55, v12, v4, s71
                                        ; implicit-def: $vgpr12_vgpr13
; %bb.482:                              ;   in Loop: Header=BB12_444 Depth=2
	s_andn2_saveexec_b64 s[52:53], vcc
; %bb.483:                              ;   in Loop: Header=BB12_444 Depth=2
	v_or_b32_e32 v4, 0x10000, v12
	v_cmp_eq_u32_sdwa vcc, v12, v60 src0_sel:WORD_0 src1_sel:DWORD
	v_cndmask_b32_e32 v55, v4, v12, vcc
; %bb.484:                              ;   in Loop: Header=BB12_444 Depth=2
	s_or_b64 exec, exec, s[52:53]
	v_lshlrev_b32_e32 v4, 16, v44
	v_lshlrev_b32_e32 v6, 16, v53
	v_pk_add_f32 v[12:13], v[4:5], v[6:7] op_sel_hi:[0,1]
	v_and_b32_e32 v4, 0x7f800000, v12
	v_cmp_ne_u32_e32 vcc, s70, v4
                                        ; implicit-def: $vgpr53
	s_and_saveexec_b64 s[52:53], vcc
	s_xor_b64 vcc, exec, s[52:53]
; %bb.485:                              ;   in Loop: Header=BB12_444 Depth=2
	v_bfe_u32 v4, v12, 16, 1
	v_add3_u32 v53, v12, v4, s71
                                        ; implicit-def: $vgpr12_vgpr13
; %bb.486:                              ;   in Loop: Header=BB12_444 Depth=2
	s_andn2_saveexec_b64 s[52:53], vcc
; %bb.487:                              ;   in Loop: Header=BB12_444 Depth=2
	v_or_b32_e32 v4, 0x10000, v12
	v_cmp_eq_u32_sdwa vcc, v12, v60 src0_sel:WORD_0 src1_sel:DWORD
	v_cndmask_b32_e32 v53, v4, v12, vcc
; %bb.488:                              ;   in Loop: Header=BB12_444 Depth=2
	s_or_b64 exec, exec, s[52:53]
	v_lshlrev_b32_e32 v4, 16, v52
	v_lshlrev_b32_e32 v6, 16, v51
	v_pk_add_f32 v[12:13], v[4:5], v[6:7] op_sel_hi:[0,1]
	v_and_b32_e32 v4, 0x7f800000, v12
	v_cmp_ne_u32_e32 vcc, s70, v4
                                        ; implicit-def: $vgpr51
	s_and_saveexec_b64 s[52:53], vcc
	s_xor_b64 vcc, exec, s[52:53]
; %bb.489:                              ;   in Loop: Header=BB12_444 Depth=2
	v_bfe_u32 v4, v12, 16, 1
	v_add3_u32 v51, v12, v4, s71
                                        ; implicit-def: $vgpr12_vgpr13
; %bb.490:                              ;   in Loop: Header=BB12_444 Depth=2
	s_andn2_saveexec_b64 s[52:53], vcc
; %bb.491:                              ;   in Loop: Header=BB12_444 Depth=2
	v_or_b32_e32 v4, 0x10000, v12
	v_cmp_eq_u32_sdwa vcc, v12, v60 src0_sel:WORD_0 src1_sel:DWORD
	v_cndmask_b32_e32 v51, v4, v12, vcc
; %bb.492:                              ;   in Loop: Header=BB12_444 Depth=2
	s_or_b64 exec, exec, s[52:53]
	v_lshlrev_b32_e32 v4, 16, v50
	v_lshlrev_b32_e32 v6, 16, v48
	v_pk_add_f32 v[12:13], v[4:5], v[6:7] op_sel_hi:[0,1]
	v_and_b32_e32 v4, 0x7f800000, v12
	v_cmp_ne_u32_e32 vcc, s70, v4
                                        ; implicit-def: $vgpr4
	s_and_saveexec_b64 s[52:53], vcc
	s_xor_b64 vcc, exec, s[52:53]
; %bb.493:                              ;   in Loop: Header=BB12_444 Depth=2
	v_bfe_u32 v4, v12, 16, 1
	v_add3_u32 v4, v12, v4, s71
                                        ; implicit-def: $vgpr12_vgpr13
; %bb.494:                              ;   in Loop: Header=BB12_444 Depth=2
	s_andn2_saveexec_b64 s[52:53], vcc
; %bb.495:                              ;   in Loop: Header=BB12_444 Depth=2
	v_or_b32_e32 v4, 0x10000, v12
	v_cmp_eq_u32_sdwa vcc, v12, v60 src0_sel:WORD_0 src1_sel:DWORD
	v_cndmask_b32_e32 v4, v4, v12, vcc
; %bb.496:                              ;   in Loop: Header=BB12_444 Depth=2
	s_or_b64 exec, exec, s[52:53]
	v_lshlrev_b32_e32 v6, 16, v39
	v_lshlrev_b32_e32 v8, 16, v37
	v_pk_add_f32 v[12:13], v[6:7], v[8:9] op_sel_hi:[0,1]
	v_and_b32_e32 v5, 0x7f800000, v12
	v_cmp_ne_u32_e32 vcc, s70, v5
                                        ; implicit-def: $vgpr5
	s_and_saveexec_b64 s[52:53], vcc
	s_xor_b64 vcc, exec, s[52:53]
; %bb.497:                              ;   in Loop: Header=BB12_444 Depth=2
	v_bfe_u32 v5, v12, 16, 1
	v_add3_u32 v5, v12, v5, s71
                                        ; implicit-def: $vgpr12_vgpr13
; %bb.498:                              ;   in Loop: Header=BB12_444 Depth=2
	s_andn2_saveexec_b64 s[52:53], vcc
; %bb.499:                              ;   in Loop: Header=BB12_444 Depth=2
	v_or_b32_e32 v5, 0x10000, v12
	v_cmp_eq_u32_sdwa vcc, v12, v60 src0_sel:WORD_0 src1_sel:DWORD
	v_cndmask_b32_e32 v5, v5, v12, vcc
; %bb.500:                              ;   in Loop: Header=BB12_444 Depth=2
	s_or_b64 exec, exec, s[52:53]
	v_lshlrev_b32_e32 v6, 16, v36
	v_lshlrev_b32_e32 v8, 16, v34
	v_pk_add_f32 v[12:13], v[6:7], v[8:9] op_sel_hi:[0,1]
	v_and_b32_e32 v6, 0x7f800000, v12
	v_cmp_ne_u32_e32 vcc, s70, v6
                                        ; implicit-def: $vgpr34
	s_and_saveexec_b64 s[52:53], vcc
	s_xor_b64 vcc, exec, s[52:53]
; %bb.501:                              ;   in Loop: Header=BB12_444 Depth=2
	v_bfe_u32 v6, v12, 16, 1
	v_add3_u32 v34, v12, v6, s71
                                        ; implicit-def: $vgpr12_vgpr13
; %bb.502:                              ;   in Loop: Header=BB12_444 Depth=2
	s_andn2_saveexec_b64 s[52:53], vcc
; %bb.503:                              ;   in Loop: Header=BB12_444 Depth=2
	v_or_b32_e32 v6, 0x10000, v12
	v_cmp_eq_u32_sdwa vcc, v12, v60 src0_sel:WORD_0 src1_sel:DWORD
	v_cndmask_b32_e32 v34, v6, v12, vcc
; %bb.504:                              ;   in Loop: Header=BB12_444 Depth=2
	s_or_b64 exec, exec, s[52:53]
	v_lshlrev_b32_e32 v6, 16, v33
	v_lshlrev_b32_e32 v8, 16, v31
	v_pk_add_f32 v[12:13], v[6:7], v[8:9] op_sel_hi:[0,1]
	v_and_b32_e32 v6, 0x7f800000, v12
	v_cmp_ne_u32_e32 vcc, s70, v6
                                        ; implicit-def: $vgpr6
	s_and_saveexec_b64 s[52:53], vcc
	s_xor_b64 vcc, exec, s[52:53]
; %bb.505:                              ;   in Loop: Header=BB12_444 Depth=2
	v_bfe_u32 v6, v12, 16, 1
	v_add3_u32 v6, v12, v6, s71
                                        ; implicit-def: $vgpr12_vgpr13
; %bb.506:                              ;   in Loop: Header=BB12_444 Depth=2
	s_andn2_saveexec_b64 s[52:53], vcc
; %bb.507:                              ;   in Loop: Header=BB12_444 Depth=2
	v_or_b32_e32 v6, 0x10000, v12
	v_cmp_eq_u32_sdwa vcc, v12, v60 src0_sel:WORD_0 src1_sel:DWORD
	v_cndmask_b32_e32 v6, v6, v12, vcc
; %bb.508:                              ;   in Loop: Header=BB12_444 Depth=2
	s_or_b64 exec, exec, s[52:53]
	v_lshlrev_b32_e32 v8, 16, v30
	v_lshlrev_b32_e32 v12, 16, v28
	v_pk_add_f32 v[12:13], v[8:9], v[12:13] op_sel_hi:[0,1]
	v_and_b32_e32 v7, 0x7f800000, v12
	v_cmp_ne_u32_e32 vcc, s70, v7
                                        ; implicit-def: $vgpr7
	s_and_saveexec_b64 s[52:53], vcc
	s_xor_b64 vcc, exec, s[52:53]
; %bb.509:                              ;   in Loop: Header=BB12_444 Depth=2
	v_bfe_u32 v7, v12, 16, 1
	v_add3_u32 v7, v12, v7, s71
                                        ; implicit-def: $vgpr12_vgpr13
; %bb.510:                              ;   in Loop: Header=BB12_444 Depth=2
	s_andn2_saveexec_b64 s[52:53], vcc
	s_cbranch_execz .LBB12_443
; %bb.511:                              ;   in Loop: Header=BB12_444 Depth=2
	v_or_b32_e32 v7, 0x10000, v12
	v_cmp_eq_u32_sdwa vcc, v12, v60 src0_sel:WORD_0 src1_sel:DWORD
	v_cndmask_b32_e32 v7, v7, v12, vcc
	s_branch .LBB12_443
.LBB12_512:                             ;   in Loop: Header=BB12_49 Depth=1
	s_or_b64 exec, exec, s[48:49]
	v_lshlrev_b32_e32 v34, 16, v49
	v_lshlrev_b32_e32 v33, 16, v18
	;; [unrolled: 1-line block ×6, first 2 shown]
	v_accvgpr_read_b32 v25, a5
	v_accvgpr_read_b32 v51, a15
	;; [unrolled: 1-line block ×4, first 2 shown]
	v_lshlrev_b32_e32 v6, 16, v17
	v_lshlrev_b32_e32 v31, 16, v38
	;; [unrolled: 1-line block ×10, first 2 shown]
	s_and_b64 s[24:25], s[24:25], exec
	v_accvgpr_read_b32 v24, a4
	v_accvgpr_read_b32 v50, a14
	;; [unrolled: 1-line block ×11, first 2 shown]
	v_mov_b32_e32 v38, 1
	v_mov_b32_e32 v39, 0x80
	v_mov_b32_e32 v55, v41
.LBB12_513:                             ;   in Loop: Header=BB12_49 Depth=1
	s_or_b64 exec, exec, s[22:23]
	s_and_saveexec_b64 s[22:23], s[24:25]
	s_cbranch_execz .LBB12_547
; %bb.514:                              ;   in Loop: Header=BB12_49 Depth=1
	v_add_f32_e32 v6, v6, v34
	v_and_b32_e32 v7, 0x7f800000, v6
	v_cmp_ne_u32_e32 vcc, s70, v7
                                        ; implicit-def: $vgpr10
	s_and_saveexec_b64 s[24:25], vcc
	s_xor_b64 s[24:25], exec, s[24:25]
; %bb.515:                              ;   in Loop: Header=BB12_49 Depth=1
	v_bfe_u32 v7, v6, 16, 1
	v_add3_u32 v10, v6, v7, s71
                                        ; implicit-def: $vgpr6
; %bb.516:                              ;   in Loop: Header=BB12_49 Depth=1
	s_andn2_saveexec_b64 s[24:25], s[24:25]
; %bb.517:                              ;   in Loop: Header=BB12_49 Depth=1
	v_or_b32_e32 v7, 0x10000, v6
	v_cmp_eq_u32_sdwa vcc, v6, v60 src0_sel:WORD_0 src1_sel:DWORD
	v_cndmask_b32_e32 v10, v7, v6, vcc
; %bb.518:                              ;   in Loop: Header=BB12_49 Depth=1
	s_or_b64 exec, exec, s[24:25]
	v_add_f32_e32 v6, v33, v31
	v_and_b32_e32 v7, 0x7f800000, v6
	v_cmp_ne_u32_e32 vcc, s70, v7
                                        ; implicit-def: $vgpr11
	s_and_saveexec_b64 s[24:25], vcc
	s_xor_b64 s[24:25], exec, s[24:25]
; %bb.519:                              ;   in Loop: Header=BB12_49 Depth=1
	v_bfe_u32 v7, v6, 16, 1
	v_add3_u32 v11, v6, v7, s71
                                        ; implicit-def: $vgpr6
; %bb.520:                              ;   in Loop: Header=BB12_49 Depth=1
	s_andn2_saveexec_b64 s[24:25], s[24:25]
; %bb.521:                              ;   in Loop: Header=BB12_49 Depth=1
	v_or_b32_e32 v7, 0x10000, v6
	v_cmp_eq_u32_sdwa vcc, v6, v60 src0_sel:WORD_0 src1_sel:DWORD
	v_cndmask_b32_e32 v11, v7, v6, vcc
; %bb.522:                              ;   in Loop: Header=BB12_49 Depth=1
	s_or_b64 exec, exec, s[24:25]
	v_add_f32_e32 v5, v30, v5
	v_and_b32_e32 v6, 0x7f800000, v5
	v_cmp_ne_u32_e32 vcc, s70, v6
                                        ; implicit-def: $vgpr22
	s_and_saveexec_b64 s[24:25], vcc
	s_xor_b64 s[24:25], exec, s[24:25]
; %bb.523:                              ;   in Loop: Header=BB12_49 Depth=1
	v_bfe_u32 v6, v5, 16, 1
	v_add3_u32 v22, v5, v6, s71
                                        ; implicit-def: $vgpr5
; %bb.524:                              ;   in Loop: Header=BB12_49 Depth=1
	s_andn2_saveexec_b64 s[24:25], s[24:25]
; %bb.525:                              ;   in Loop: Header=BB12_49 Depth=1
	v_or_b32_e32 v6, 0x10000, v5
	v_cmp_eq_u32_sdwa vcc, v5, v60 src0_sel:WORD_0 src1_sel:DWORD
	v_cndmask_b32_e32 v22, v6, v5, vcc
; %bb.526:                              ;   in Loop: Header=BB12_49 Depth=1
	s_or_b64 exec, exec, s[24:25]
	v_add_f32_e32 v5, v28, v4
	v_and_b32_e32 v4, 0x7f800000, v5
	v_cmp_ne_u32_e32 vcc, s70, v4
                                        ; implicit-def: $vgpr4
	s_and_saveexec_b64 s[24:25], vcc
	s_xor_b64 s[24:25], exec, s[24:25]
; %bb.527:                              ;   in Loop: Header=BB12_49 Depth=1
	v_bfe_u32 v4, v5, 16, 1
	v_add3_u32 v4, v5, v4, s71
                                        ; implicit-def: $vgpr5
; %bb.528:                              ;   in Loop: Header=BB12_49 Depth=1
	s_andn2_saveexec_b64 s[24:25], s[24:25]
; %bb.529:                              ;   in Loop: Header=BB12_49 Depth=1
	v_or_b32_e32 v4, 0x10000, v5
	v_cmp_eq_u32_sdwa vcc, v5, v60 src0_sel:WORD_0 src1_sel:DWORD
	v_cndmask_b32_e32 v4, v4, v5, vcc
; %bb.530:                              ;   in Loop: Header=BB12_49 Depth=1
	s_or_b64 exec, exec, s[24:25]
	v_add_f32_e32 v6, v21, v20
	v_and_b32_e32 v5, 0x7f800000, v6
	v_cmp_ne_u32_e32 vcc, s70, v5
                                        ; implicit-def: $vgpr5
	s_and_saveexec_b64 s[24:25], vcc
	s_xor_b64 s[24:25], exec, s[24:25]
; %bb.531:                              ;   in Loop: Header=BB12_49 Depth=1
	v_bfe_u32 v5, v6, 16, 1
	v_add3_u32 v5, v6, v5, s71
                                        ; implicit-def: $vgpr6
; %bb.532:                              ;   in Loop: Header=BB12_49 Depth=1
	s_andn2_saveexec_b64 s[24:25], s[24:25]
; %bb.533:                              ;   in Loop: Header=BB12_49 Depth=1
	v_or_b32_e32 v5, 0x10000, v6
	v_cmp_eq_u32_sdwa vcc, v6, v60 src0_sel:WORD_0 src1_sel:DWORD
	v_cndmask_b32_e32 v5, v5, v6, vcc
; %bb.534:                              ;   in Loop: Header=BB12_49 Depth=1
	s_or_b64 exec, exec, s[24:25]
	v_add_f32_e32 v6, v19, v18
	v_and_b32_e32 v7, 0x7f800000, v6
	v_cmp_ne_u32_e32 vcc, s70, v7
                                        ; implicit-def: $vgpr18
	s_and_saveexec_b64 s[24:25], vcc
	s_xor_b64 s[24:25], exec, s[24:25]
; %bb.535:                              ;   in Loop: Header=BB12_49 Depth=1
	v_bfe_u32 v7, v6, 16, 1
	v_add3_u32 v18, v6, v7, s71
                                        ; implicit-def: $vgpr6
; %bb.536:                              ;   in Loop: Header=BB12_49 Depth=1
	s_andn2_saveexec_b64 s[24:25], s[24:25]
; %bb.537:                              ;   in Loop: Header=BB12_49 Depth=1
	v_or_b32_e32 v7, 0x10000, v6
	v_cmp_eq_u32_sdwa vcc, v6, v60 src0_sel:WORD_0 src1_sel:DWORD
	v_cndmask_b32_e32 v18, v7, v6, vcc
; %bb.538:                              ;   in Loop: Header=BB12_49 Depth=1
	s_or_b64 exec, exec, s[24:25]
	v_add_f32_e32 v7, v17, v13
	v_and_b32_e32 v6, 0x7f800000, v7
	v_cmp_ne_u32_e32 vcc, s70, v6
                                        ; implicit-def: $vgpr6
	s_and_saveexec_b64 s[24:25], vcc
	s_xor_b64 s[24:25], exec, s[24:25]
; %bb.539:                              ;   in Loop: Header=BB12_49 Depth=1
	v_bfe_u32 v6, v7, 16, 1
	v_add3_u32 v6, v7, v6, s71
                                        ; implicit-def: $vgpr7
; %bb.540:                              ;   in Loop: Header=BB12_49 Depth=1
	s_andn2_saveexec_b64 s[24:25], s[24:25]
; %bb.541:                              ;   in Loop: Header=BB12_49 Depth=1
	v_or_b32_e32 v6, 0x10000, v7
	v_cmp_eq_u32_sdwa vcc, v7, v60 src0_sel:WORD_0 src1_sel:DWORD
	v_cndmask_b32_e32 v6, v6, v7, vcc
; %bb.542:                              ;   in Loop: Header=BB12_49 Depth=1
	s_or_b64 exec, exec, s[24:25]
	v_add_f32_e32 v3, v3, v2
	v_and_b32_e32 v2, 0x7f800000, v3
	v_cmp_ne_u32_e32 vcc, s70, v2
                                        ; implicit-def: $vgpr2
	s_and_saveexec_b64 s[24:25], vcc
	s_xor_b64 s[24:25], exec, s[24:25]
; %bb.543:                              ;   in Loop: Header=BB12_49 Depth=1
	v_bfe_u32 v2, v3, 16, 1
	v_add3_u32 v2, v3, v2, s71
                                        ; implicit-def: $vgpr3
; %bb.544:                              ;   in Loop: Header=BB12_49 Depth=1
	s_andn2_saveexec_b64 s[24:25], s[24:25]
; %bb.545:                              ;   in Loop: Header=BB12_49 Depth=1
	v_or_b32_e32 v2, 0x10000, v3
	v_cmp_eq_u32_sdwa vcc, v3, v60 src0_sel:WORD_0 src1_sel:DWORD
	v_cndmask_b32_e32 v2, v2, v3, vcc
; %bb.546:                              ;   in Loop: Header=BB12_49 Depth=1
	s_or_b64 exec, exec, s[24:25]
	flat_store_short_d16_hi v[0:1], v10 glc slc
	flat_store_short_d16_hi v[0:1], v11 offset:128 glc slc
	flat_store_short_d16_hi v[0:1], v22 offset:256 glc slc
	;; [unrolled: 1-line block ×7, first 2 shown]
.LBB12_547:                             ;   in Loop: Header=BB12_49 Depth=1
	s_or_b64 exec, exec, s[22:23]
	v_lshlrev_b32_e32 v0, 10, v16
	v_cmp_ne_u32_e32 vcc, v61, v0
	s_and_b64 s[22:23], exec, vcc
	v_accvgpr_read_b32 v28, a34
	v_accvgpr_read_b32 v29, a35
	v_mov_b32_e32 v30, v40
	v_mov_b32_e32 v31, v59
	s_mov_b64 exec, s[22:23]
	s_cbranch_execz .LBB12_573
; %bb.548:                              ;   in Loop: Header=BB12_49 Depth=1
	v_lshlrev_b32_e32 v1, 6, v12
	v_sub_u32_e32 v1, v15, v1
	v_ashrrev_i32_e32 v2, 31, v1
	v_lshrrev_b32_e32 v2, 26, v2
	v_add_u32_e32 v2, v1, v2
	v_and_b32_e32 v3, 0x7fffffc0, v2
	v_sub_u32_e32 v1, v1, v3
	v_lshlrev_b32_e32 v2, 1, v2
	v_and_b32_e32 v2, 0xffffff80, v2
	v_lshlrev_b32_e32 v1, 1, v1
	v_add3_u32 v0, v2, v1, v0
	v_add_u32_e32 v2, v0, v14
	v_accvgpr_read_b32 v6, a50
	v_ashrrev_i32_e32 v1, 31, v2
	v_accvgpr_read_b32 v7, a51
	v_add_co_u32_e32 v12, vcc, v2, v6
	v_sub_u32_e32 v4, v61, v0
	v_addc_co_u32_e32 v13, vcc, v1, v7, vcc
	v_cmp_lt_i32_e32 vcc, 1, v4
	s_mov_b64 s[22:23], 0
	s_and_saveexec_b64 s[48:49], vcc
	s_cbranch_execz .LBB12_567
; %bb.549:                              ;   in Loop: Header=BB12_49 Depth=1
	s_trap 2
	ds_read_b128 v[6:9], v0
	s_mov_b64 s[54:55], 0
	s_mov_b64 s[50:51], 0
                                        ; implicit-def: $sgpr52_sgpr53
	s_waitcnt lgkmcnt(0)
	v_add_co_u32_e32 v0, vcc, v6, v2
	v_addc_co_u32_e32 v11, vcc, v7, v1, vcc
	v_add_co_u32_e32 v2, vcc, v8, v2
	v_addc_co_u32_e32 v3, vcc, v9, v1, vcc
	s_branch .LBB12_551
.LBB12_550:                             ;   in Loop: Header=BB12_551 Depth=2
	s_or_b64 exec, exec, s[22:23]
	v_lshrrev_b32_e32 v4, 16, v4
	buffer_store_short v4, off, s[0:3], s33 offset:144
	flat_store_short v[12:13], v4 glc slc
	v_add_co_u32_e32 v4, vcc, v0, v32
	v_addc_co_u32_e32 v5, vcc, v11, v35, vcc
	v_add_co_u32_e32 v6, vcc, v2, v32
	v_addc_co_u32_e32 v7, vcc, v3, v35, vcc
	v_cndmask_b32_e64 v9, v39, v36, s[54:55]
	v_cndmask_b32_e64 v8, 0, v37, s[54:55]
	v_add_co_u32_e32 v12, vcc, v12, v9
	v_cndmask_b32_e64 v0, v0, v4, s[54:55]
	v_cndmask_b32_e64 v4, 0, v23, s[54:55]
	v_addc_co_u32_e32 v13, vcc, v13, v8, vcc
	v_sub_u32_e32 v4, v1, v4
	v_cmp_gt_i32_e32 vcc, 2, v4
	s_or_b64 s[50:51], vcc, s[50:51]
	s_andn2_b64 s[22:23], s[52:53], exec
	s_and_b64 s[24:25], s[54:55], exec
	v_cndmask_b32_e64 v3, v3, v7, s[54:55]
	v_cndmask_b32_e64 v2, v2, v6, s[54:55]
	;; [unrolled: 1-line block ×3, first 2 shown]
	s_or_b64 s[52:53], s[22:23], s[24:25]
	s_andn2_b64 exec, exec, s[50:51]
	s_cbranch_execz .LBB12_566
.LBB12_551:                             ;   Parent Loop BB12_49 Depth=1
                                        ; =>  This Loop Header: Depth=2
                                        ;       Child Loop BB12_552 Depth 3
                                        ;       Child Loop BB12_561 Depth 3
	v_lshrrev_b32_e64 v1, 6, s33
	v_add_u32_e32 v1, 0x90, v1
	s_mov_b64 s[56:57], -1
	s_mov_b64 s[58:59], 0
.LBB12_552:                             ;   Parent Loop BB12_49 Depth=1
                                        ;     Parent Loop BB12_551 Depth=2
                                        ; =>    This Inner Loop Header: Depth=3
	s_cmp_eq_u32 s58, 1
	s_cselect_b64 s[22:23], -1, 0
	v_cndmask_b32_e64 v7, v11, v3, s[22:23]
	v_cndmask_b32_e64 v6, v0, v2, s[22:23]
	flat_load_ushort v5, v[6:7] glc slc
	v_add_co_u32_e32 v6, vcc, 0x80, v6
	s_cmp_eq_u32 s58, 0
	v_addc_co_u32_e32 v7, vcc, 0, v7, vcc
	s_cselect_b64 vcc, -1, 0
	s_and_b64 s[24:25], exec, s[56:57]
	s_mov_b64 s[58:59], 1
	v_cndmask_b32_e64 v2, v2, v6, s[22:23]
	s_mov_b64 s[56:57], 0
	v_cndmask_b32_e64 v3, v3, v7, s[22:23]
	v_cndmask_b32_e32 v11, v11, v7, vcc
	v_cndmask_b32_e32 v0, v0, v6, vcc
	s_mov_b64 vcc, s[24:25]
	s_waitcnt vmcnt(0) lgkmcnt(0)
	buffer_store_short v5, v1, s[0:3], 0 offen
	v_lshrrev_b32_e64 v1, 6, s33
	v_add_u32_e32 v1, 0xb0, v1
	s_cbranch_vccnz .LBB12_552
; %bb.553:                              ;   in Loop: Header=BB12_551 Depth=2
	s_and_saveexec_b64 s[22:23], s[54:55]
	s_cbranch_execz .LBB12_559
; %bb.554:                              ;   in Loop: Header=BB12_551 Depth=2
	buffer_load_ushort v1, off, s[0:3], s33 offset:142
	buffer_load_ushort v5, off, s[0:3], s33 offset:140
	s_waitcnt vmcnt(1)
	v_lshlrev_b32_e32 v6, 16, v1
	s_waitcnt vmcnt(0)
	v_lshlrev_b32_e32 v8, 16, v5
	v_pk_add_f32 v[14:15], v[6:7], v[8:9] op_sel_hi:[0,1]
	v_and_b32_e32 v1, 0x7f800000, v14
	v_cmp_ne_u32_e32 vcc, s70, v1
                                        ; implicit-def: $vgpr1
	s_and_saveexec_b64 s[24:25], vcc
	s_xor_b64 s[24:25], exec, s[24:25]
; %bb.555:                              ;   in Loop: Header=BB12_551 Depth=2
	v_bfe_u32 v1, v14, 16, 1
	v_add3_u32 v1, v14, v1, s71
                                        ; implicit-def: $vgpr14_vgpr15
; %bb.556:                              ;   in Loop: Header=BB12_551 Depth=2
	s_andn2_saveexec_b64 s[24:25], s[24:25]
; %bb.557:                              ;   in Loop: Header=BB12_551 Depth=2
	v_or_b32_e32 v1, 0x10000, v14
	v_cmp_eq_u32_sdwa vcc, v14, v60 src0_sel:WORD_0 src1_sel:DWORD
	v_cndmask_b32_e32 v1, v1, v14, vcc
; %bb.558:                              ;   in Loop: Header=BB12_551 Depth=2
	s_or_b64 exec, exec, s[24:25]
	v_lshrrev_b32_e32 v1, 16, v1
	flat_store_short v[12:13], v1 glc slc
	v_add_co_u32_e32 v12, vcc, v12, v36
	v_addc_co_u32_e32 v13, vcc, v13, v37, vcc
	buffer_store_short v1, off, s[0:3], s33 offset:140
.LBB12_559:                             ;   in Loop: Header=BB12_551 Depth=2
	s_or_b64 exec, exec, s[22:23]
	v_add_co_u32_e32 v0, vcc, v0, v32
	v_addc_co_u32_e32 v11, vcc, v11, v35, vcc
	v_add_co_u32_e32 v2, vcc, v2, v32
	v_sub_u32_e32 v1, v4, v23
	v_addc_co_u32_e32 v3, vcc, v3, v35, vcc
	v_cmp_lt_i32_e64 s[54:55], 1, v1
	s_and_saveexec_b64 s[56:57], s[54:55]
	s_cbranch_execz .LBB12_562
; %bb.560:                              ;   in Loop: Header=BB12_551 Depth=2
	v_lshrrev_b32_e64 v4, 6, s33
	v_add_u32_e32 v4, 0x8c, v4
	s_mov_b64 s[60:61], 0
	s_mov_b64 s[58:59], -1
.LBB12_561:                             ;   Parent Loop BB12_49 Depth=1
                                        ;     Parent Loop BB12_551 Depth=2
                                        ; =>    This Inner Loop Header: Depth=3
	s_cmp_eq_u32 s60, 1
	s_cselect_b64 s[22:23], -1, 0
	v_cndmask_b32_e64 v7, v11, v3, s[22:23]
	v_cndmask_b32_e64 v6, v0, v2, s[22:23]
	flat_load_ushort v5, v[6:7] glc slc
	v_add_co_u32_e32 v6, vcc, 0x80, v6
	s_cmp_eq_u32 s60, 0
	v_addc_co_u32_e32 v7, vcc, 0, v7, vcc
	s_cselect_b64 vcc, -1, 0
	s_and_b64 s[24:25], exec, s[58:59]
	s_mov_b64 s[60:61], 1
	v_cndmask_b32_e64 v2, v2, v6, s[22:23]
	s_mov_b64 s[58:59], 0
	v_cndmask_b32_e32 v11, v11, v7, vcc
	v_cndmask_b32_e32 v0, v0, v6, vcc
	v_cndmask_b32_e64 v3, v3, v7, s[22:23]
	s_mov_b64 vcc, s[24:25]
	s_waitcnt vmcnt(0) lgkmcnt(0)
	buffer_store_short v5, v4, s[0:3], 0 offen
	v_lshrrev_b32_e64 v4, 6, s33
	v_add_u32_e32 v4, 0x8e, v4
	s_cbranch_vccnz .LBB12_561
.LBB12_562:                             ;   in Loop: Header=BB12_551 Depth=2
	s_or_b64 exec, exec, s[56:57]
	buffer_load_ushort v4, off, s[0:3], s33 offset:176
	buffer_load_ushort v5, off, s[0:3], s33 offset:144
	s_waitcnt vmcnt(0)
	v_lshlrev_b32_e32 v4, 16, v4
	v_lshlrev_b32_e32 v6, 16, v5
	v_pk_add_f32 v[14:15], v[4:5], v[6:7] op_sel_hi:[0,1]
	v_and_b32_e32 v4, 0x7f800000, v14
	v_cmp_ne_u32_e32 vcc, s70, v4
                                        ; implicit-def: $vgpr4
	s_and_saveexec_b64 s[22:23], vcc
	s_xor_b64 s[22:23], exec, s[22:23]
; %bb.563:                              ;   in Loop: Header=BB12_551 Depth=2
	v_bfe_u32 v4, v14, 16, 1
	v_add3_u32 v4, v14, v4, s71
                                        ; implicit-def: $vgpr14_vgpr15
; %bb.564:                              ;   in Loop: Header=BB12_551 Depth=2
	s_andn2_saveexec_b64 s[22:23], s[22:23]
	s_cbranch_execz .LBB12_550
; %bb.565:                              ;   in Loop: Header=BB12_551 Depth=2
	v_or_b32_e32 v4, 0x10000, v14
	v_cmp_eq_u32_sdwa vcc, v14, v60 src0_sel:WORD_0 src1_sel:DWORD
	v_cndmask_b32_e32 v4, v4, v14, vcc
	s_branch .LBB12_550
.LBB12_566:                             ;   in Loop: Header=BB12_49 Depth=1
	s_or_b64 exec, exec, s[50:51]
	s_and_b64 s[22:23], s[52:53], exec
.LBB12_567:                             ;   in Loop: Header=BB12_49 Depth=1
	s_or_b64 exec, exec, s[48:49]
	s_and_b64 exec, exec, s[22:23]
	s_cbranch_execz .LBB12_573
; %bb.568:                              ;   in Loop: Header=BB12_49 Depth=1
	buffer_load_ushort v0, off, s[0:3], s33 offset:142
	buffer_load_ushort v1, off, s[0:3], s33 offset:140
	s_waitcnt vmcnt(0)
	v_lshlrev_b32_e32 v0, 16, v0
	v_lshlrev_b32_e32 v2, 16, v1
	v_pk_add_f32 v[0:1], v[0:1], v[2:3] op_sel_hi:[0,1]
	v_and_b32_e32 v1, 0x7f800000, v0
	v_cmp_ne_u32_e32 vcc, s70, v1
                                        ; implicit-def: $vgpr2
	s_and_saveexec_b64 s[22:23], vcc
	s_xor_b64 s[22:23], exec, s[22:23]
; %bb.569:                              ;   in Loop: Header=BB12_49 Depth=1
	v_bfe_u32 v1, v0, 16, 1
	v_add3_u32 v2, v0, v1, s71
                                        ; implicit-def: $vgpr0_vgpr1
; %bb.570:                              ;   in Loop: Header=BB12_49 Depth=1
	s_andn2_saveexec_b64 s[22:23], s[22:23]
; %bb.571:                              ;   in Loop: Header=BB12_49 Depth=1
	v_or_b32_e32 v1, 0x10000, v0
	v_cmp_eq_u32_sdwa vcc, v0, v60 src0_sel:WORD_0 src1_sel:DWORD
	v_cndmask_b32_e32 v2, v1, v0, vcc
; %bb.572:                              ;   in Loop: Header=BB12_49 Depth=1
	s_or_b64 exec, exec, s[22:23]
	flat_store_short_d16_hi v[12:13], v2 glc slc
.LBB12_573:                             ;   in Loop: Header=BB12_49 Depth=1
	s_or_b64 exec, exec, s[26:27]
	v_cmp_ne_u32_e64 s[22:23], 0, v31
.LBB12_574:                             ;   in Loop: Header=BB12_49 Depth=1
	s_and_saveexec_b64 s[24:25], s[12:13]
	s_cbranch_execz .LBB12_593
; %bb.575:                              ;   in Loop: Header=BB12_49 Depth=1
	s_and_saveexec_b64 s[26:27], s[38:39]
	s_xor_b64 s[26:27], exec, s[26:27]
	s_cbranch_execz .LBB12_590
; %bb.576:                              ;   in Loop: Header=BB12_49 Depth=1
	s_and_saveexec_b64 s[48:49], s[14:15]
	s_cbranch_execz .LBB12_589
; %bb.577:                              ;   in Loop: Header=BB12_49 Depth=1
	s_mov_b64 s[52:53], exec
	v_mbcnt_lo_u32_b32 v0, s52, 0
	v_mbcnt_hi_u32_b32 v0, s53, v0
	v_cmp_eq_u32_e32 vcc, 0, v0
	s_waitcnt vmcnt(0) lgkmcnt(0)
	buffer_wbinvl1_vol
	s_and_saveexec_b64 s[50:51], vcc
	s_cbranch_execz .LBB12_579
; %bb.578:                              ;   in Loop: Header=BB12_49 Depth=1
	s_bcnt1_i32_b64 vcc_lo, s[52:53]
	v_mov_b32_e32 v0, vcc_lo
	v_mov_b32_e32 v1, v60
	ds_add_u64 v0, v[0:1]
	s_trap 2
.LBB12_579:                             ;   in Loop: Header=BB12_49 Depth=1
	s_or_b64 exec, exec, s[50:51]
	s_trap 2
	ds_read_b64 v[0:1], v0
	v_add_co_u32_e32 v26, vcc, v26, v42
	v_addc_co_u32_e32 v27, vcc, 0, v27, vcc
	s_waitcnt lgkmcnt(0)
	v_cmp_lt_u64_e32 vcc, v[0:1], v[26:27]
	s_and_saveexec_b64 s[50:51], vcc
	s_cbranch_execz .LBB12_588
; %bb.580:                              ;   in Loop: Header=BB12_49 Depth=1
	s_mov_b32 s62, 0
	s_mov_b64 s[52:53], 0
                                        ; implicit-def: $sgpr54_sgpr55
                                        ; implicit-def: $sgpr56_sgpr57
	s_branch .LBB12_582
.LBB12_581:                             ;   in Loop: Header=BB12_582 Depth=2
	s_or_b64 exec, exec, s[60:61]
	s_and_b64 vcc, exec, vcc
	s_or_b64 s[52:53], vcc, s[52:53]
	s_andn2_b64 vcc, s[54:55], exec
	s_and_b64 s[54:55], s[56:57], exec
	s_or_b64 s[54:55], vcc, s[54:55]
	s_andn2_b64 exec, exec, s[52:53]
	s_cbranch_execz .LBB12_586
.LBB12_582:                             ;   Parent Loop BB12_49 Depth=1
                                        ; =>  This Inner Loop Header: Depth=2
	s_add_i32 s62, s62, 1
	s_cmpk_lg_i32 s62, 0x2710
	s_cselect_b64 s[58:59], -1, 0
	s_and_b64 vcc, exec, s[58:59]
                                        ; implicit-def: $sgpr60_sgpr61
	s_cbranch_vccnz .LBB12_584
; %bb.583:                              ;   in Loop: Header=BB12_582 Depth=2
	s_trap 2
	ds_read_b64 v[0:1], v0
	s_andn2_b64 s[58:59], s[58:59], exec
	s_mov_b32 s62, 0
	s_mov_b64 s[60:61], -1
	s_waitcnt lgkmcnt(0)
	flat_load_dword v0, v[0:1] glc
	s_waitcnt vmcnt(0) lgkmcnt(0)
	buffer_invl2
	buffer_wbinvl1_vol
	v_cmp_eq_u32_e32 vcc, 0, v0
	s_and_b64 vcc, vcc, exec
	s_or_b64 s[58:59], s[58:59], vcc
.LBB12_584:                             ;   in Loop: Header=BB12_582 Depth=2
	s_andn2_b64 s[56:57], s[56:57], exec
	s_and_b64 s[60:61], s[60:61], exec
	s_mov_b64 vcc, -1
	s_or_b64 s[56:57], s[56:57], s[60:61]
	s_and_saveexec_b64 s[60:61], s[58:59]
	s_cbranch_execz .LBB12_581
; %bb.585:                              ;   in Loop: Header=BB12_582 Depth=2
	s_sleep 1
	s_trap 2
	ds_read_b64 v[0:1], v0
	s_andn2_b64 s[56:57], s[56:57], exec
	s_waitcnt lgkmcnt(0)
	v_cmp_ge_u64_e32 vcc, v[0:1], v[26:27]
	s_orn2_b64 vcc, vcc, exec
	s_branch .LBB12_581
.LBB12_586:                             ;   in Loop: Header=BB12_49 Depth=1
	s_or_b64 exec, exec, s[52:53]
	s_and_saveexec_b64 vcc, s[54:55]
	s_xor_b64 vcc, exec, vcc
	s_cbranch_execz .LBB12_588
; %bb.587:                              ;   in Loop: Header=BB12_49 Depth=1
	ds_write_b32 v0, v38
	s_trap 2
.LBB12_588:                             ;   in Loop: Header=BB12_49 Depth=1
	s_or_b64 exec, exec, s[50:51]
	;;#ASMSTART
	s_wakeup
	;;#ASMEND
.LBB12_589:                             ;   in Loop: Header=BB12_49 Depth=1
	s_or_b64 exec, exec, s[48:49]
.LBB12_590:                             ;   in Loop: Header=BB12_49 Depth=1
	s_andn2_saveexec_b64 s[26:27], s[26:27]
	s_cbranch_execz .LBB12_592
; %bb.591:                              ;   in Loop: Header=BB12_49 Depth=1
	s_waitcnt vmcnt(0) lgkmcnt(0)
	buffer_wbinvl1_vol
	s_barrier
.LBB12_592:                             ;   in Loop: Header=BB12_49 Depth=1
	s_or_b64 exec, exec, s[26:27]
.LBB12_593:                             ;   in Loop: Header=BB12_49 Depth=1
	s_or_b64 exec, exec, s[24:25]
	v_and_b32_e32 v0, 16, v62
	v_cmp_ne_u32_e32 vcc, 0, v0
	s_and_b64 s[24:25], vcc, s[22:23]
	s_and_saveexec_b64 s[22:23], s[24:25]
	s_cbranch_execz .LBB12_595
; %bb.594:                              ;   in Loop: Header=BB12_49 Depth=1
	s_waitcnt vmcnt(0) lgkmcnt(0)
	buffer_wbinvl1_vol
.LBB12_595:                             ;   in Loop: Header=BB12_49 Depth=1
	s_or_b64 exec, exec, s[22:23]
	v_cmp_ne_u32_e32 vcc, 0, v0
	s_xor_b64 s[22:23], s[20:21], -1
	s_and_b64 s[24:25], vcc, s[22:23]
	s_and_saveexec_b64 s[22:23], s[24:25]
	s_cbranch_execz .LBB12_597
; %bb.596:                              ;   in Loop: Header=BB12_49 Depth=1
	v_accvgpr_read_b32 v0, a26
	v_accvgpr_read_b32 v1, a27
	flat_store_dword v[0:1], v38
.LBB12_597:                             ;   in Loop: Header=BB12_49 Depth=1
	s_or_b64 exec, exec, s[22:23]
	v_and_b32_e32 v0, 48, v62
	v_cmp_ne_u32_e32 vcc, 0, v0
	s_and_saveexec_b64 s[22:23], vcc
	s_cbranch_execz .LBB12_599
; %bb.598:                              ;   in Loop: Header=BB12_49 Depth=1
	v_add_co_u32_e32 v50, vcc, 1, v50
	v_accvgpr_read_b32 v0, a16
	v_addc_co_u32_e32 v51, vcc, 0, v51, vcc
	v_accvgpr_read_b32 v1, a17
	flat_store_dwordx2 v[0:1], v[50:51]
.LBB12_599:                             ;   in Loop: Header=BB12_49 Depth=1
	s_or_b64 exec, exec, s[22:23]
	v_mov_b32_e32 v1, v55
.LBB12_600:                             ;   in Loop: Header=BB12_49 Depth=1
	s_or_b64 exec, exec, s[46:47]
	s_and_saveexec_b64 s[24:25], s[44:45]
	s_cbranch_execz .LBB12_48
; %bb.601:                              ;   in Loop: Header=BB12_49 Depth=1
	v_and_b32_e32 v0, 12, v62
	v_cmp_ne_u32_e32 vcc, 0, v0
	s_mov_b64 s[26:27], -1
	s_and_saveexec_b64 s[22:23], vcc
	s_cbranch_execz .LBB12_613
; %bb.602:                              ;   in Loop: Header=BB12_49 Depth=1
	v_and_b32_e32 v0, 8, v62
	v_add_co_u32_e32 v4, vcc, v46, v0
	v_addc_co_u32_e32 v5, vcc, 0, v47, vcc
	v_add_co_u32_e32 v2, vcc, 1, v50
	v_addc_co_u32_e32 v3, vcc, 0, v51, vcc
	v_cmp_lt_u64_e32 vcc, v[4:5], v[2:3]
	v_mov_b32_e32 v4, 1
	s_and_saveexec_b64 s[26:27], vcc
	s_cbranch_execz .LBB12_612
; %bb.603:                              ;   in Loop: Header=BB12_49 Depth=1
	s_mov_b64 s[44:45], 0
	v_mov_b32_e32 v4, 0
                                        ; implicit-def: $sgpr46_sgpr47
	s_branch .LBB12_607
.LBB12_604:                             ;   in Loop: Header=BB12_607 Depth=2
	s_or_b64 exec, exec, s[54:55]
	v_mov_b32_e32 v5, 0
	s_orn2_b64 s[52:53], s[52:53], exec
.LBB12_605:                             ;   in Loop: Header=BB12_607 Depth=2
	s_or_b64 exec, exec, s[50:51]
	s_andn2_b64 vcc, s[46:47], exec
	s_and_b64 s[46:47], s[52:53], exec
	s_or_b64 s[46:47], vcc, s[46:47]
	v_mov_b32_e32 v4, v5
.LBB12_606:                             ;   in Loop: Header=BB12_607 Depth=2
	s_or_b64 exec, exec, s[48:49]
	s_waitcnt vmcnt(0) lgkmcnt(0)
	v_add_co_u32_e32 v6, vcc, v46, v0
	v_addc_co_u32_e32 v7, vcc, 0, v47, vcc
	v_cmp_ge_u64_e32 vcc, v[6:7], v[2:3]
	s_xor_b64 s[48:49], s[46:47], -1
	s_or_b64 vcc, s[48:49], vcc
	s_and_b64 vcc, exec, vcc
	s_or_b64 s[44:45], vcc, s[44:45]
	s_andn2_b64 exec, exec, s[44:45]
	s_cbranch_execz .LBB12_611
.LBB12_607:                             ;   Parent Loop BB12_49 Depth=1
                                        ; =>  This Inner Loop Header: Depth=2
	v_accvgpr_read_b32 v6, a16
	v_accvgpr_read_b32 v7, a17
	s_sleep 1
	flat_load_dwordx2 v[46:47], v[6:7] glc
	v_and_b32_e32 v5, 64, v62
	v_cmp_eq_u32_e32 vcc, 0, v5
	s_andn2_b64 s[46:47], s[46:47], exec
	s_and_saveexec_b64 s[48:49], vcc
	s_cbranch_execz .LBB12_606
; %bb.608:                              ;   in Loop: Header=BB12_607 Depth=2
	v_add_u32_e32 v5, 1, v4
	v_cmp_lt_i32_e32 vcc, s68, v4
	s_mov_b64 s[52:53], -1
	s_and_saveexec_b64 s[50:51], vcc
	s_cbranch_execz .LBB12_605
; %bb.609:                              ;   in Loop: Header=BB12_607 Depth=2
	s_trap 2
	ds_read_b64 v[4:5], v0
	s_waitcnt vmcnt(0) lgkmcnt(0)
	flat_load_dword v4, v[4:5] glc
	s_waitcnt vmcnt(0) lgkmcnt(0)
	buffer_invl2
	buffer_wbinvl1_vol
	v_cmp_ne_u32_e32 vcc, 0, v4
	s_and_saveexec_b64 s[54:55], vcc
	s_cbranch_execz .LBB12_604
; %bb.610:                              ;   in Loop: Header=BB12_607 Depth=2
	v_or_b32_e32 v62, 64, v62
	s_xor_b64 s[52:53], exec, -1
	ds_write_b32 v0, v4
	s_trap 2
	s_branch .LBB12_604
.LBB12_611:                             ;   in Loop: Header=BB12_49 Depth=1
	s_or_b64 exec, exec, s[44:45]
	v_and_b32_e32 v4, 12, v62
.LBB12_612:                             ;   in Loop: Header=BB12_49 Depth=1
	s_or_b64 exec, exec, s[26:27]
	v_cmp_eq_u32_e32 vcc, 0, v4
	s_orn2_b64 s[26:27], vcc, exec
	;;#ASMSTART
	s_wakeup
	;;#ASMEND
.LBB12_613:                             ;   in Loop: Header=BB12_49 Depth=1
	s_or_b64 exec, exec, s[22:23]
	v_sub_u32_e32 v0, v30, v1
	s_xor_b64 s[22:23], s[26:27], -1
	v_min_i32_e32 v0, v55, v0
	s_and_saveexec_b64 s[26:27], s[22:23]
	s_cbranch_execz .LBB12_627
; %bb.614:                              ;   in Loop: Header=BB12_49 Depth=1
	v_and_b32_e32 v1, 0x108, v62
	v_cmp_ne_u32_e32 vcc, s69, v1
	v_and_b32_e32 v2, 7, v50
	s_and_saveexec_b64 s[22:23], vcc
	s_xor_b64 s[22:23], exec, s[22:23]
                                        ; implicit-def: $vgpr10_vgpr11
; %bb.615:                              ;   in Loop: Header=BB12_49 Depth=1
	v_mov_b32_e32 v11, v60
; %bb.616:                              ;   in Loop: Header=BB12_49 Depth=1
	s_andn2_saveexec_b64 s[22:23], s[22:23]
	s_cbranch_execz .LBB12_618
; %bb.617:                              ;   in Loop: Header=BB12_49 Depth=1
	v_ashrrev_i32_e32 v1, 31, v0
	v_mov_b32_e32 v11, v60
	v_mad_u64_u32 v[4:5], vcc, v2, 24, v[48:49]
	v_lshlrev_b64 v[6:7], 1, v[0:1]
	flat_store_dwordx2 v[4:5], v[6:7] offset:8
.LBB12_618:                             ;   in Loop: Header=BB12_49 Depth=1
	s_or_b64 exec, exec, s[22:23]
	v_and_b32_e32 v1, 0x100, v62
	v_cmp_ne_u32_e32 vcc, 0, v1
	s_mov_b64 s[22:23], -1
                                        ; implicit-def: $vgpr12_vgpr13
	s_and_saveexec_b64 s[44:45], vcc
	s_cbranch_execz .LBB12_622
; %bb.619:                              ;   in Loop: Header=BB12_49 Depth=1
	v_mad_u64_u32 v[14:15], s[22:23], v2, 24, v[48:49]
	v_mov_b32_e32 v4, v15
	v_mad_u64_u32 v[4:5], s[22:23], v11, 24, v[4:5]
	v_mov_b32_e32 v15, v4
	flat_load_dword v1, v[14:15]
                                        ; implicit-def: $vgpr12_vgpr13
	s_waitcnt vmcnt(0) lgkmcnt(0)
	v_cmp_ne_u32_e32 vcc, 1, v1
	v_cmp_eq_u32_e64 s[22:23], 1, v1
	s_and_saveexec_b64 s[46:47], s[22:23]
	s_cbranch_execz .LBB12_621
; %bb.620:                              ;   in Loop: Header=BB12_49 Depth=1
	flat_load_dword v4, v[14:15] offset:4 glc
	s_waitcnt vmcnt(0) lgkmcnt(0)
	v_ashrrev_i32_e32 v5, 31, v4
	v_lshrrev_b64 v[12:13], 1, v[4:5]
.LBB12_621:                             ;   in Loop: Header=BB12_49 Depth=1
	s_or_b64 exec, exec, s[46:47]
	s_orn2_b64 s[22:23], vcc, exec
.LBB12_622:                             ;   in Loop: Header=BB12_49 Depth=1
	s_or_b64 exec, exec, s[44:45]
	s_and_saveexec_b64 vcc, s[22:23]
; %bb.623:                              ;   in Loop: Header=BB12_49 Depth=1
	v_accvgpr_read_b32 v4, a18
	v_accvgpr_read_b32 v3, a3
	v_mul_lo_u32 v1, v11, v4
	v_mul_lo_u32 v3, v2, v3
	v_mad_u64_u32 v[12:13], s[22:23], v2, v4, 0
	v_add3_u32 v13, v13, v3, v1
; %bb.624:                              ;   in Loop: Header=BB12_49 Depth=1
	s_or_b64 exec, exec, vcc
	v_lshlrev_b64 v[2:3], 1, v[12:13]
	v_accvgpr_read_b32 v4, a20
	v_accvgpr_read_b32 v5, a21
	v_add_co_u32_e32 v2, vcc, v4, v2
	v_addc_co_u32_e32 v3, vcc, v5, v3, vcc
	v_and_b32_e32 v1, 0x2000, v62
	v_cmp_ne_u32_e32 vcc, 0, v1
	s_trap 2
	ds_write_b64 v0, v[2:3]
	s_and_saveexec_b64 s[22:23], vcc
	s_cbranch_execz .LBB12_626
; %bb.625:                              ;   in Loop: Header=BB12_49 Depth=1
	ds_read_b64 v[2:3], v0 offset:584
	s_waitcnt lgkmcnt(0)
	v_add_co_u32_e32 v2, vcc, 1, v2
	v_addc_co_u32_e32 v3, vcc, 0, v3, vcc
	ds_write_b64 v0, v[2:3] offset:584
.LBB12_626:                             ;   in Loop: Header=BB12_49 Depth=1
	s_or_b64 exec, exec, s[22:23]
	v_add_co_u32_e32 v50, vcc, 1, v50
	v_addc_co_u32_e32 v51, vcc, 0, v51, vcc
.LBB12_627:                             ;   in Loop: Header=BB12_49 Depth=1
	s_or_b64 exec, exec, s[26:27]
	s_and_saveexec_b64 s[22:23], s[12:13]
	s_cbranch_execz .LBB12_646
; %bb.628:                              ;   in Loop: Header=BB12_49 Depth=1
	s_and_saveexec_b64 s[26:27], s[38:39]
	s_xor_b64 s[26:27], exec, s[26:27]
	s_cbranch_execz .LBB12_643
; %bb.629:                              ;   in Loop: Header=BB12_49 Depth=1
	s_and_saveexec_b64 s[44:45], s[14:15]
	s_cbranch_execz .LBB12_642
; %bb.630:                              ;   in Loop: Header=BB12_49 Depth=1
	s_mov_b64 s[48:49], exec
	v_mbcnt_lo_u32_b32 v1, s48, 0
	v_mbcnt_hi_u32_b32 v1, s49, v1
	v_cmp_eq_u32_e32 vcc, 0, v1
	s_waitcnt vmcnt(0) lgkmcnt(0)
	buffer_wbinvl1_vol
	s_and_saveexec_b64 s[46:47], vcc
	s_cbranch_execz .LBB12_632
; %bb.631:                              ;   in Loop: Header=BB12_49 Depth=1
	s_bcnt1_i32_b64 vcc_lo, s[48:49]
	v_mov_b32_e32 v2, vcc_lo
	v_mov_b32_e32 v3, v60
	ds_add_u64 v0, v[2:3]
	s_trap 2
.LBB12_632:                             ;   in Loop: Header=BB12_49 Depth=1
	s_or_b64 exec, exec, s[46:47]
	s_trap 2
	ds_read_b64 v[2:3], v0
	v_add_co_u32_e32 v26, vcc, v26, v42
	v_addc_co_u32_e32 v27, vcc, 0, v27, vcc
	s_waitcnt lgkmcnt(0)
	v_cmp_lt_u64_e32 vcc, v[2:3], v[26:27]
	s_and_saveexec_b64 s[46:47], vcc
	s_cbranch_execz .LBB12_641
; %bb.633:                              ;   in Loop: Header=BB12_49 Depth=1
	s_mov_b32 s58, 0
	s_mov_b64 s[48:49], 0
                                        ; implicit-def: $sgpr50_sgpr51
                                        ; implicit-def: $sgpr52_sgpr53
	s_branch .LBB12_635
.LBB12_634:                             ;   in Loop: Header=BB12_635 Depth=2
	s_or_b64 exec, exec, s[56:57]
	s_and_b64 vcc, exec, vcc
	s_or_b64 s[48:49], vcc, s[48:49]
	s_andn2_b64 vcc, s[50:51], exec
	s_and_b64 s[50:51], s[52:53], exec
	s_or_b64 s[50:51], vcc, s[50:51]
	s_andn2_b64 exec, exec, s[48:49]
	s_cbranch_execz .LBB12_639
.LBB12_635:                             ;   Parent Loop BB12_49 Depth=1
                                        ; =>  This Inner Loop Header: Depth=2
	s_add_i32 s58, s58, 1
	s_cmpk_lg_i32 s58, 0x2710
	s_cselect_b64 s[54:55], -1, 0
	s_and_b64 vcc, exec, s[54:55]
                                        ; implicit-def: $sgpr56_sgpr57
	s_cbranch_vccnz .LBB12_637
; %bb.636:                              ;   in Loop: Header=BB12_635 Depth=2
	s_trap 2
	ds_read_b64 v[2:3], v0
	s_andn2_b64 s[54:55], s[54:55], exec
	s_mov_b32 s58, 0
	s_mov_b64 s[56:57], -1
	s_waitcnt lgkmcnt(0)
	flat_load_dword v1, v[2:3] glc
	s_waitcnt vmcnt(0) lgkmcnt(0)
	buffer_invl2
	buffer_wbinvl1_vol
	v_cmp_eq_u32_e32 vcc, 0, v1
	s_and_b64 vcc, vcc, exec
	s_or_b64 s[54:55], s[54:55], vcc
.LBB12_637:                             ;   in Loop: Header=BB12_635 Depth=2
	s_andn2_b64 s[52:53], s[52:53], exec
	s_and_b64 s[56:57], s[56:57], exec
	s_mov_b64 vcc, -1
	s_or_b64 s[52:53], s[52:53], s[56:57]
	s_and_saveexec_b64 s[56:57], s[54:55]
	s_cbranch_execz .LBB12_634
; %bb.638:                              ;   in Loop: Header=BB12_635 Depth=2
	s_sleep 1
	s_trap 2
	ds_read_b64 v[2:3], v0
	s_andn2_b64 s[52:53], s[52:53], exec
	s_waitcnt lgkmcnt(0)
	v_cmp_ge_u64_e32 vcc, v[2:3], v[26:27]
	s_orn2_b64 vcc, vcc, exec
	s_branch .LBB12_634
.LBB12_639:                             ;   in Loop: Header=BB12_49 Depth=1
	s_or_b64 exec, exec, s[48:49]
	s_and_saveexec_b64 vcc, s[50:51]
	s_xor_b64 vcc, exec, vcc
	s_cbranch_execz .LBB12_641
; %bb.640:                              ;   in Loop: Header=BB12_49 Depth=1
	ds_write_b32 v0, v38
	s_trap 2
.LBB12_641:                             ;   in Loop: Header=BB12_49 Depth=1
	s_or_b64 exec, exec, s[46:47]
	;;#ASMSTART
	s_wakeup
	;;#ASMEND
.LBB12_642:                             ;   in Loop: Header=BB12_49 Depth=1
	s_or_b64 exec, exec, s[44:45]
.LBB12_643:                             ;   in Loop: Header=BB12_49 Depth=1
	s_andn2_saveexec_b64 s[26:27], s[26:27]
	s_cbranch_execz .LBB12_645
; %bb.644:                              ;   in Loop: Header=BB12_49 Depth=1
	s_waitcnt vmcnt(0) lgkmcnt(0)
	buffer_wbinvl1_vol
	s_barrier
.LBB12_645:                             ;   in Loop: Header=BB12_49 Depth=1
	s_or_b64 exec, exec, s[26:27]
.LBB12_646:                             ;   in Loop: Header=BB12_49 Depth=1
	s_or_b64 exec, exec, s[22:23]
	s_trap 2
	ds_read_b32 v1, v0
	v_cmp_lt_i32_e32 vcc, 0, v0
	v_and_b32_e32 v0, 16, v62
	s_waitcnt lgkmcnt(0)
	v_readfirstlane_b32 s22, v1
	s_cmp_eq_u32 s22, 0
	s_cselect_b64 s[22:23], -1, 0
	s_and_b64 s[22:23], vcc, s[22:23]
	v_cmp_ne_u32_e32 vcc, 0, v0
	s_and_b64 s[26:27], vcc, s[22:23]
	s_and_saveexec_b64 s[22:23], s[26:27]
	s_cbranch_execz .LBB12_648
; %bb.647:                              ;   in Loop: Header=BB12_49 Depth=1
	s_waitcnt vmcnt(0)
	buffer_wbinvl1_vol
.LBB12_648:                             ;   in Loop: Header=BB12_49 Depth=1
	s_or_b64 exec, exec, s[22:23]
	v_cmp_ne_u32_e32 vcc, 0, v0
	s_xor_b64 s[22:23], s[20:21], -1
	s_and_b64 s[26:27], vcc, s[22:23]
	s_and_saveexec_b64 s[22:23], s[26:27]
	s_cbranch_execz .LBB12_650
; %bb.649:                              ;   in Loop: Header=BB12_49 Depth=1
	v_accvgpr_read_b32 v0, a26
	v_accvgpr_read_b32 v1, a27
	flat_store_dword v[0:1], v38
.LBB12_650:                             ;   in Loop: Header=BB12_49 Depth=1
	s_or_b64 exec, exec, s[22:23]
	v_and_b32_e32 v0, 48, v62
	v_cmp_ne_u32_e32 vcc, 0, v0
	s_and_saveexec_b64 s[22:23], vcc
	s_cbranch_execz .LBB12_47
; %bb.651:                              ;   in Loop: Header=BB12_49 Depth=1
	v_add_co_u32_e32 v50, vcc, 1, v50
	v_accvgpr_read_b32 v0, a16
	v_addc_co_u32_e32 v51, vcc, 0, v51, vcc
	v_accvgpr_read_b32 v1, a17
	flat_store_dwordx2 v[0:1], v[50:51]
	s_branch .LBB12_47
.LBB12_652:
	s_or_b64 exec, exec, s[40:41]
	v_accvgpr_read_b32 v23, a11
	v_accvgpr_read_b32 v29, a0
	;; [unrolled: 1-line block ×5, first 2 shown]
.LBB12_653:
	s_or_b64 exec, exec, s[36:37]
                                        ; implicit-def: $agpr6_agpr7
                                        ; implicit-def: $vgpr24_vgpr25
                                        ; implicit-def: $agpr18
                                        ; implicit-def: $vgpr46_vgpr47
                                        ; implicit-def: $agpr20_agpr21
                                        ; implicit-def: $agpr16_agpr17
                                        ; implicit-def: $vgpr0
                                        ; implicit-def: $vgpr1
                                        ; implicit-def: $vgpr52_vgpr53
.LBB12_654:
	s_andn2_saveexec_b64 s[24:25], s[34:35]
	s_cbranch_execz .LBB12_1252
; %bb.655:
	v_pk_mov_b32 v[26:27], 0, 0
	s_and_saveexec_b64 s[26:27], s[6:7]
	s_cbranch_execz .LBB12_1251
; %bb.656:
	v_and_b32_e32 v2, 63, v31
	v_cmp_eq_u32_e64 s[12:13], 0, v2
	v_ashrrev_i32_e32 v2, 31, v0
	v_lshrrev_b32_e32 v2, 26, v2
	v_add_u32_e32 v2, v0, v2
	s_lshr_b32 s6, s64, 27
	v_ashrrev_i32_e32 v34, 6, v2
	v_and_b32_e32 v2, 0xffffffc0, v2
	s_add_i32 s6, s64, s6
	v_sub_u32_e32 v37, v0, v2
	s_ashr_i32 s60, s6, 5
	v_cmp_ge_i32_e64 s[6:7], v0, v29
	v_lshlrev_b32_e32 v0, 4, v37
	v_lshl_add_u32 v0, v34, 11, v0
	v_lshrrev_b32_e32 v42, 6, v29
	v_cmp_le_i32_e64 s[14:15], v37, v1
	v_accvgpr_write_b32 a24, v0
	v_ashrrev_i32_e32 v1, 31, v0
	v_mov_b32_e32 v0, 0xfffff800
	v_lshl_add_u32 v0, v42, 11, v0
	s_movk_i32 s61, 0x800
	v_accvgpr_write_b32 a23, v1
	v_ashrrev_i32_e32 v1, 31, v0
	v_add_co_u32_e64 v43, s[18:19], s61, v0
	s_waitcnt vmcnt(0) lgkmcnt(0)
	v_accvgpr_write_b32 a26, v0
	v_addc_co_u32_e64 v0, s[18:19], 0, v1, s[18:19]
	v_accvgpr_write_b32 a27, v0
	v_lshrrev_b32_e64 v0, 6, s33
	v_add_u32_e32 v0, 0xb0, v0
	v_add_u32_e32 v39, 16, v0
	v_lshrrev_b32_e64 v0, 6, s33
	v_add_u32_e32 v0, 0x90, v0
	v_lshlrev_b32_e32 v40, 10, v42
	v_add_u32_e32 v61, 16, v0
	v_add_u32_e32 v0, 0xfffffc00, v40
	s_movk_i32 s62, 0x400
	v_accvgpr_write_b32 a25, v1
	v_ashrrev_i32_e32 v1, 31, v0
	v_accvgpr_write_b32 a30, v0
	v_add_co_u32_e64 v0, s[18:19], s62, v0
	v_accvgpr_write_b32 a32, v0
	v_addc_co_u32_e64 v0, s[18:19], 0, v1, s[18:19]
	v_lshlrev_b32_e32 v41, 7, v42
	v_add_u32_e32 v44, 0xffffff80, v41
	s_movk_i32 s18, 0x80
	v_ashrrev_i32_e32 v57, 31, v44
	v_add_co_u32_e64 v56, s[18:19], s18, v44
	v_accvgpr_write_b32 a2, v22
	v_cmp_eq_u32_e32 vcc, 64, v29
	v_accvgpr_write_b32 a33, v0
	v_addc_co_u32_e64 v0, s[18:19], 0, v57, s[18:19]
	v_pk_mov_b32 v[2:3], 0, 0
	v_accvgpr_write_b32 a0, v24
	v_accvgpr_write_b32 a14, v52
	;; [unrolled: 1-line block ×3, first 2 shown]
	v_cmp_ne_u32_e64 s[10:11], 64, v29
	v_cmp_ne_u32_sdwa s[34:35], v30, v29 src0_sel:WORD_0 src1_sel:DWORD
	v_mov_b32_e32 v55, 0
	v_cmp_gt_i32_e64 s[16:17], 1, v37
	v_accvgpr_write_b32 a31, v1
	s_mov_b64 s[36:37], 0
	s_movk_i32 s63, 0x270e
	s_xor_b64 s[38:39], vcc, -1
	s_mov_b32 s65, 0x7f800000
	s_movk_i32 s66, 0x7fff
	s_mov_b32 s67, 0xffff0000
	v_pk_mov_b32 v[26:27], v[2:3], v[2:3] op_sel:[0,1]
	v_accvgpr_write_b32 a1, v25
	v_accvgpr_write_b32 a15, v53
	;; [unrolled: 1-line block ×11, first 2 shown]
	s_trap 2
	s_branch .LBB12_659
.LBB12_657:                             ;   in Loop: Header=BB12_659 Depth=1
	s_or_b64 exec, exec, s[18:19]
.LBB12_658:                             ;   in Loop: Header=BB12_659 Depth=1
	s_or_b64 exec, exec, s[20:21]
	v_accvgpr_read_b32 v2, a40
	v_accvgpr_read_b32 v3, a41
	v_add_co_u32_e32 v2, vcc, v2, v52
	v_addc_co_u32_e32 v3, vcc, 0, v3, vcc
	v_cmp_ge_u64_e32 vcc, v[2:3], v[24:25]
	s_or_b64 s[36:37], vcc, s[36:37]
	s_andn2_b64 exec, exec, s[36:37]
	s_cbranch_execz .LBB12_1250
.LBB12_659:                             ; =>This Loop Header: Depth=1
                                        ;     Child Loop BB12_670 Depth 2
                                        ;     Child Loop BB12_692 Depth 2
	;; [unrolled: 1-line block ×5, first 2 shown]
                                        ;       Child Loop BB12_936 Depth 3
                                        ;       Child Loop BB12_973 Depth 3
                                        ;     Child Loop BB12_1050 Depth 2
                                        ;     Child Loop BB12_1157 Depth 2
                                        ;       Child Loop BB12_1158 Depth 3
                                        ;       Child Loop BB12_1167 Depth 3
                                        ;     Child Loop BB12_1188 Depth 2
                                        ;     Child Loop BB12_1213 Depth 2
	;; [unrolled: 1-line block ×3, first 2 shown]
	v_sub_co_u32_e32 v0, vcc, v24, v2
	v_subb_co_u32_e32 v1, vcc, v25, v3, vcc
	v_accvgpr_write_b32 a41, v3
	v_cmp_lt_u64_e32 vcc, v[52:53], v[0:1]
	v_accvgpr_write_b32 a40, v2
	v_cndmask_b32_e64 v3, v1, 0, vcc
	v_cndmask_b32_e32 v2, v0, v52, vcc
	v_add_u32_e32 v0, 15, v2
	v_cmp_eq_u64_e32 vcc, 0, v[2:3]
	v_and_b32_e32 v0, 0x3ffffff0, v0
	s_or_b64 s[40:41], s[6:7], vcc
	v_max_i32_e32 v22, s60, v0
	v_accvgpr_write_b32 a42, v2
	s_xor_b64 s[18:19], s[40:41], -1
	v_mov_b32_e32 v10, 0
	s_and_saveexec_b64 s[42:43], s[18:19]
	s_cbranch_execz .LBB12_1204
; %bb.660:                              ;   in Loop: Header=BB12_659 Depth=1
	s_and_saveexec_b64 s[18:19], s[4:5]
	s_cbranch_execz .LBB12_662
; %bb.661:                              ;   in Loop: Header=BB12_659 Depth=1
	s_trap 2
	ds_read2_b64 v[0:3], v0 offset1:1
	v_accvgpr_read_b32 v4, a6
	v_accvgpr_read_b32 v6, a40
	;; [unrolled: 1-line block ×4, first 2 shown]
	v_add_co_u32_e32 v4, vcc, v6, v4
	v_addc_co_u32_e32 v5, vcc, v7, v5, vcc
	v_lshlrev_b64 v[4:5], 1, v[4:5]
	s_waitcnt lgkmcnt(0)
	ds_read_b64 v[6:7], v0
	v_add_co_u32_e32 v0, vcc, v0, v4
	v_addc_co_u32_e32 v1, vcc, v1, v5, vcc
	ds_write_b64 v0, v[0:1]
	v_add_co_u32_e32 v0, vcc, v2, v4
	v_addc_co_u32_e32 v1, vcc, v3, v5, vcc
	ds_write_b64 v0, v[0:1]
	s_waitcnt lgkmcnt(0)
	v_add_co_u32_e32 v0, vcc, v6, v4
	v_addc_co_u32_e32 v1, vcc, v7, v5, vcc
	v_cmp_ne_u64_e32 vcc, 0, v[6:7]
	v_cndmask_b32_e32 v1, 0, v1, vcc
	v_cndmask_b32_e32 v0, 0, v0, vcc
	ds_write_b64 v0, v[0:1]
.LBB12_662:                             ;   in Loop: Header=BB12_659 Depth=1
	s_or_b64 exec, exec, s[18:19]
	v_and_b32_e32 v0, 4, v62
	v_cmp_ne_u32_e32 vcc, 0, v0
	s_mov_b64 s[20:21], -1
	s_and_saveexec_b64 s[18:19], vcc
	s_cbranch_execnz .LBB12_665
; %bb.663:                              ;   in Loop: Header=BB12_659 Depth=1
	s_or_b64 exec, exec, s[18:19]
	s_xor_b64 s[18:19], s[20:21], -1
	s_and_saveexec_b64 s[20:21], s[18:19]
	s_cbranch_execnz .LBB12_676
.LBB12_664:                             ;   in Loop: Header=BB12_659 Depth=1
	s_or_b64 exec, exec, s[20:21]
	s_and_saveexec_b64 s[18:19], s[10:11]
	s_cbranch_execnz .LBB12_685
	s_branch .LBB12_703
.LBB12_665:                             ;   in Loop: Header=BB12_659 Depth=1
	v_add_co_u32_e32 v0, vcc, 1, v50
	v_addc_co_u32_e32 v1, vcc, 0, v51, vcc
	v_cmp_lt_u64_e32 vcc, v[46:47], v[0:1]
	v_mov_b32_e32 v2, 1
	s_and_saveexec_b64 s[20:21], vcc
	s_cbranch_execz .LBB12_675
; %bb.666:                              ;   in Loop: Header=BB12_659 Depth=1
	s_mov_b64 s[22:23], 0
	v_mov_b32_e32 v2, 0
                                        ; implicit-def: $sgpr44_sgpr45
	s_branch .LBB12_670
.LBB12_667:                             ;   in Loop: Header=BB12_670 Depth=2
	s_or_b64 exec, exec, s[52:53]
	v_mov_b32_e32 v3, 0
	s_orn2_b64 s[50:51], s[50:51], exec
.LBB12_668:                             ;   in Loop: Header=BB12_670 Depth=2
	s_or_b64 exec, exec, s[48:49]
	s_andn2_b64 vcc, s[44:45], exec
	s_and_b64 s[44:45], s[50:51], exec
	s_or_b64 s[44:45], vcc, s[44:45]
	v_mov_b32_e32 v2, v3
.LBB12_669:                             ;   in Loop: Header=BB12_670 Depth=2
	s_or_b64 exec, exec, s[46:47]
	s_waitcnt vmcnt(0) lgkmcnt(0)
	v_cmp_ge_u64_e32 vcc, v[46:47], v[0:1]
	s_xor_b64 s[46:47], s[44:45], -1
	s_or_b64 vcc, s[46:47], vcc
	s_and_b64 vcc, exec, vcc
	s_or_b64 s[22:23], vcc, s[22:23]
	s_andn2_b64 exec, exec, s[22:23]
	s_cbranch_execz .LBB12_674
.LBB12_670:                             ;   Parent Loop BB12_659 Depth=1
                                        ; =>  This Inner Loop Header: Depth=2
	v_accvgpr_read_b32 v4, a16
	v_accvgpr_read_b32 v5, a17
	s_sleep 1
	flat_load_dwordx2 v[46:47], v[4:5] glc
	v_and_b32_e32 v3, 64, v62
	v_cmp_eq_u32_e32 vcc, 0, v3
	s_andn2_b64 s[44:45], s[44:45], exec
	s_and_saveexec_b64 s[46:47], vcc
	s_cbranch_execz .LBB12_669
; %bb.671:                              ;   in Loop: Header=BB12_670 Depth=2
	v_add_u32_e32 v3, 1, v2
	v_cmp_lt_i32_e32 vcc, s63, v2
	s_mov_b64 s[50:51], -1
	s_and_saveexec_b64 s[48:49], vcc
	s_cbranch_execz .LBB12_668
; %bb.672:                              ;   in Loop: Header=BB12_670 Depth=2
	s_trap 2
	ds_read_b64 v[2:3], v0
	s_waitcnt vmcnt(0) lgkmcnt(0)
	flat_load_dword v2, v[2:3] glc
	s_waitcnt vmcnt(0) lgkmcnt(0)
	buffer_invl2
	buffer_wbinvl1_vol
	v_cmp_ne_u32_e32 vcc, 0, v2
	s_and_saveexec_b64 s[52:53], vcc
	s_cbranch_execz .LBB12_667
; %bb.673:                              ;   in Loop: Header=BB12_670 Depth=2
	v_or_b32_e32 v62, 64, v62
	s_xor_b64 s[50:51], exec, -1
	ds_write_b32 v0, v2
	s_trap 2
	s_branch .LBB12_667
.LBB12_674:                             ;   in Loop: Header=BB12_659 Depth=1
	s_or_b64 exec, exec, s[22:23]
	v_and_b32_e32 v2, 4, v62
.LBB12_675:                             ;   in Loop: Header=BB12_659 Depth=1
	s_or_b64 exec, exec, s[20:21]
	v_cmp_eq_u32_e32 vcc, 0, v2
	s_orn2_b64 s[20:21], vcc, exec
	;;#ASMSTART
	s_wakeup
	;;#ASMEND
	s_or_b64 exec, exec, s[18:19]
	s_xor_b64 s[18:19], s[20:21], -1
	s_and_saveexec_b64 s[20:21], s[18:19]
	s_cbranch_execz .LBB12_664
.LBB12_676:                             ;   in Loop: Header=BB12_659 Depth=1
	v_and_b32_e32 v0, 0x100, v62
	v_cmp_ne_u32_e32 vcc, 0, v0
	v_and_b32_e32 v4, 7, v50
	s_mov_b64 s[18:19], -1
                                        ; implicit-def: $vgpr0_vgpr1
	s_and_saveexec_b64 s[22:23], vcc
	s_cbranch_execz .LBB12_680
; %bb.677:                              ;   in Loop: Header=BB12_659 Depth=1
	v_mad_u64_u32 v[2:3], s[18:19], v4, 24, v[48:49]
	flat_load_dword v0, v[2:3]
	s_waitcnt vmcnt(0) lgkmcnt(0)
	v_cmp_ne_u32_e32 vcc, 1, v0
	v_cmp_eq_u32_e64 s[18:19], 1, v0
                                        ; implicit-def: $vgpr0_vgpr1
	s_and_saveexec_b64 s[44:45], s[18:19]
	s_cbranch_execz .LBB12_679
; %bb.678:                              ;   in Loop: Header=BB12_659 Depth=1
	flat_load_dword v0, v[2:3] offset:4 glc
	s_waitcnt vmcnt(0) lgkmcnt(0)
	v_ashrrev_i32_e32 v1, 31, v0
	v_lshrrev_b64 v[0:1], 1, v[0:1]
.LBB12_679:                             ;   in Loop: Header=BB12_659 Depth=1
	s_or_b64 exec, exec, s[44:45]
	s_orn2_b64 s[18:19], vcc, exec
.LBB12_680:                             ;   in Loop: Header=BB12_659 Depth=1
	s_or_b64 exec, exec, s[22:23]
	s_and_saveexec_b64 s[22:23], s[18:19]
; %bb.681:                              ;   in Loop: Header=BB12_659 Depth=1
	v_accvgpr_read_b32 v0, a18
	v_mad_i64_i32 v[0:1], s[18:19], v4, v0, 0
; %bb.682:                              ;   in Loop: Header=BB12_659 Depth=1
	s_or_b64 exec, exec, s[22:23]
	v_lshlrev_b64 v[0:1], 1, v[0:1]
	v_accvgpr_read_b32 v2, a20
	v_accvgpr_read_b32 v3, a21
	v_add_co_u32_e32 v0, vcc, v2, v0
	v_addc_co_u32_e32 v1, vcc, v3, v1, vcc
	ds_write_b64 v0, v[0:1] offset:728
	v_and_b32_e32 v0, 0x2000, v62
	v_cmp_ne_u32_e32 vcc, 0, v0
	s_and_saveexec_b64 s[18:19], vcc
	s_cbranch_execz .LBB12_684
; %bb.683:                              ;   in Loop: Header=BB12_659 Depth=1
	ds_read_b64 v[0:1], v0 offset:584
	s_waitcnt lgkmcnt(0)
	v_add_co_u32_e32 v0, vcc, 1, v0
	v_addc_co_u32_e32 v1, vcc, 0, v1, vcc
	ds_write_b64 v0, v[0:1] offset:584
.LBB12_684:                             ;   in Loop: Header=BB12_659 Depth=1
	s_or_b64 exec, exec, s[18:19]
	v_add_co_u32_e32 v50, vcc, 1, v50
	v_addc_co_u32_e32 v51, vcc, 0, v51, vcc
	s_or_b64 exec, exec, s[20:21]
	s_and_saveexec_b64 s[18:19], s[10:11]
	s_cbranch_execz .LBB12_703
.LBB12_685:                             ;   in Loop: Header=BB12_659 Depth=1
	s_and_saveexec_b64 s[20:21], s[34:35]
	s_xor_b64 s[20:21], exec, s[20:21]
	s_cbranch_execz .LBB12_700
; %bb.686:                              ;   in Loop: Header=BB12_659 Depth=1
	s_and_saveexec_b64 s[22:23], s[12:13]
	s_cbranch_execz .LBB12_699
; %bb.687:                              ;   in Loop: Header=BB12_659 Depth=1
	s_mov_b64 s[46:47], exec
	v_mbcnt_lo_u32_b32 v0, s46, 0
	v_mbcnt_hi_u32_b32 v0, s47, v0
	v_cmp_eq_u32_e32 vcc, 0, v0
	s_waitcnt vmcnt(0) lgkmcnt(0)
	buffer_wbinvl1_vol
	s_and_saveexec_b64 s[44:45], vcc
	s_cbranch_execz .LBB12_689
; %bb.688:                              ;   in Loop: Header=BB12_659 Depth=1
	s_bcnt1_i32_b64 vcc_lo, s[46:47]
	v_mov_b32_e32 v54, vcc_lo
	ds_add_u64 v0, v[54:55]
	s_trap 2
.LBB12_689:                             ;   in Loop: Header=BB12_659 Depth=1
	s_or_b64 exec, exec, s[44:45]
	s_trap 2
	ds_read_b64 v[0:1], v0
	v_add_co_u32_e32 v26, vcc, v26, v42
	v_addc_co_u32_e32 v27, vcc, 0, v27, vcc
	s_waitcnt lgkmcnt(0)
	v_cmp_lt_u64_e32 vcc, v[0:1], v[26:27]
	s_and_saveexec_b64 s[44:45], vcc
	s_cbranch_execz .LBB12_698
; %bb.690:                              ;   in Loop: Header=BB12_659 Depth=1
	s_mov_b32 s56, 0
	s_mov_b64 s[46:47], 0
                                        ; implicit-def: $sgpr48_sgpr49
                                        ; implicit-def: $sgpr50_sgpr51
	s_branch .LBB12_692
.LBB12_691:                             ;   in Loop: Header=BB12_692 Depth=2
	s_or_b64 exec, exec, s[54:55]
	s_and_b64 vcc, exec, vcc
	s_or_b64 s[46:47], vcc, s[46:47]
	s_andn2_b64 vcc, s[48:49], exec
	s_and_b64 s[48:49], s[50:51], exec
	s_or_b64 s[48:49], vcc, s[48:49]
	s_andn2_b64 exec, exec, s[46:47]
	s_cbranch_execz .LBB12_696
.LBB12_692:                             ;   Parent Loop BB12_659 Depth=1
                                        ; =>  This Inner Loop Header: Depth=2
	s_add_i32 s56, s56, 1
	s_cmpk_lg_i32 s56, 0x2710
	s_cselect_b64 s[52:53], -1, 0
	s_and_b64 vcc, exec, s[52:53]
                                        ; implicit-def: $sgpr54_sgpr55
	s_cbranch_vccnz .LBB12_694
; %bb.693:                              ;   in Loop: Header=BB12_692 Depth=2
	s_trap 2
	ds_read_b64 v[0:1], v0
	s_andn2_b64 s[52:53], s[52:53], exec
	s_mov_b32 s56, 0
	s_mov_b64 s[54:55], -1
	s_waitcnt lgkmcnt(0)
	flat_load_dword v0, v[0:1] glc
	s_waitcnt vmcnt(0) lgkmcnt(0)
	buffer_invl2
	buffer_wbinvl1_vol
	v_cmp_eq_u32_e32 vcc, 0, v0
	s_and_b64 vcc, vcc, exec
	s_or_b64 s[52:53], s[52:53], vcc
.LBB12_694:                             ;   in Loop: Header=BB12_692 Depth=2
	s_andn2_b64 s[50:51], s[50:51], exec
	s_and_b64 s[54:55], s[54:55], exec
	s_mov_b64 vcc, -1
	s_or_b64 s[50:51], s[50:51], s[54:55]
	s_and_saveexec_b64 s[54:55], s[52:53]
	s_cbranch_execz .LBB12_691
; %bb.695:                              ;   in Loop: Header=BB12_692 Depth=2
	s_sleep 1
	s_trap 2
	ds_read_b64 v[0:1], v0
	s_andn2_b64 s[50:51], s[50:51], exec
	s_waitcnt lgkmcnt(0)
	v_cmp_ge_u64_e32 vcc, v[0:1], v[26:27]
	s_orn2_b64 vcc, vcc, exec
	s_branch .LBB12_691
.LBB12_696:                             ;   in Loop: Header=BB12_659 Depth=1
	s_or_b64 exec, exec, s[46:47]
	s_and_saveexec_b64 vcc, s[48:49]
	s_xor_b64 vcc, exec, vcc
	s_cbranch_execz .LBB12_698
; %bb.697:                              ;   in Loop: Header=BB12_659 Depth=1
	v_mov_b32_e32 v0, 1
	ds_write_b32 v0, v0
	s_trap 2
.LBB12_698:                             ;   in Loop: Header=BB12_659 Depth=1
	s_or_b64 exec, exec, s[44:45]
	;;#ASMSTART
	s_wakeup
	;;#ASMEND
.LBB12_699:                             ;   in Loop: Header=BB12_659 Depth=1
	s_or_b64 exec, exec, s[22:23]
.LBB12_700:                             ;   in Loop: Header=BB12_659 Depth=1
	s_andn2_saveexec_b64 s[20:21], s[20:21]
	s_cbranch_execz .LBB12_702
; %bb.701:                              ;   in Loop: Header=BB12_659 Depth=1
	s_waitcnt vmcnt(0) lgkmcnt(0)
	buffer_wbinvl1_vol
	s_barrier
.LBB12_702:                             ;   in Loop: Header=BB12_659 Depth=1
	s_or_b64 exec, exec, s[20:21]
.LBB12_703:                             ;   in Loop: Header=BB12_659 Depth=1
	s_or_b64 exec, exec, s[18:19]
	s_trap 2
	ds_read_b32 v0, v0
	v_and_b32_e32 v1, 0x4000, v62
	v_cmp_ne_u32_e32 vcc, 0, v1
	s_and_b64 s[20:21], s[38:39], vcc
	s_and_saveexec_b64 s[18:19], s[20:21]
	s_cbranch_execz .LBB12_722
; %bb.704:                              ;   in Loop: Header=BB12_659 Depth=1
	s_and_saveexec_b64 s[20:21], s[34:35]
	s_xor_b64 s[20:21], exec, s[20:21]
	s_cbranch_execz .LBB12_719
; %bb.705:                              ;   in Loop: Header=BB12_659 Depth=1
	s_and_saveexec_b64 s[22:23], s[12:13]
	s_cbranch_execz .LBB12_718
; %bb.706:                              ;   in Loop: Header=BB12_659 Depth=1
	s_mov_b64 s[46:47], exec
	v_mbcnt_lo_u32_b32 v1, s46, 0
	v_mbcnt_hi_u32_b32 v1, s47, v1
	v_cmp_eq_u32_e32 vcc, 0, v1
	s_waitcnt vmcnt(0) lgkmcnt(0)
	buffer_wbinvl1_vol
	s_and_saveexec_b64 s[44:45], vcc
	s_cbranch_execz .LBB12_708
; %bb.707:                              ;   in Loop: Header=BB12_659 Depth=1
	s_bcnt1_i32_b64 vcc_lo, s[46:47]
	v_mov_b32_e32 v54, vcc_lo
	ds_add_u64 v0, v[54:55]
	s_trap 2
.LBB12_708:                             ;   in Loop: Header=BB12_659 Depth=1
	s_or_b64 exec, exec, s[44:45]
	s_trap 2
	ds_read_b64 v[2:3], v0
	v_add_co_u32_e32 v26, vcc, v26, v42
	v_addc_co_u32_e32 v27, vcc, 0, v27, vcc
	s_waitcnt lgkmcnt(0)
	v_cmp_lt_u64_e32 vcc, v[2:3], v[26:27]
	s_and_saveexec_b64 s[44:45], vcc
	s_cbranch_execz .LBB12_717
; %bb.709:                              ;   in Loop: Header=BB12_659 Depth=1
	s_mov_b32 s56, 0
	s_mov_b64 s[46:47], 0
                                        ; implicit-def: $sgpr48_sgpr49
                                        ; implicit-def: $sgpr50_sgpr51
	s_branch .LBB12_711
.LBB12_710:                             ;   in Loop: Header=BB12_711 Depth=2
	s_or_b64 exec, exec, s[54:55]
	s_and_b64 vcc, exec, vcc
	s_or_b64 s[46:47], vcc, s[46:47]
	s_andn2_b64 vcc, s[48:49], exec
	s_and_b64 s[48:49], s[50:51], exec
	s_or_b64 s[48:49], vcc, s[48:49]
	s_andn2_b64 exec, exec, s[46:47]
	s_cbranch_execz .LBB12_715
.LBB12_711:                             ;   Parent Loop BB12_659 Depth=1
                                        ; =>  This Inner Loop Header: Depth=2
	s_add_i32 s56, s56, 1
	s_cmpk_lg_i32 s56, 0x2710
	s_cselect_b64 s[52:53], -1, 0
	s_and_b64 vcc, exec, s[52:53]
                                        ; implicit-def: $sgpr54_sgpr55
	s_cbranch_vccnz .LBB12_713
; %bb.712:                              ;   in Loop: Header=BB12_711 Depth=2
	s_trap 2
	ds_read_b64 v[2:3], v0
	s_andn2_b64 s[52:53], s[52:53], exec
	s_mov_b32 s56, 0
	s_mov_b64 s[54:55], -1
	s_waitcnt lgkmcnt(0)
	flat_load_dword v1, v[2:3] glc
	s_waitcnt vmcnt(0) lgkmcnt(0)
	buffer_invl2
	buffer_wbinvl1_vol
	v_cmp_eq_u32_e32 vcc, 0, v1
	s_and_b64 vcc, vcc, exec
	s_or_b64 s[52:53], s[52:53], vcc
.LBB12_713:                             ;   in Loop: Header=BB12_711 Depth=2
	s_andn2_b64 s[50:51], s[50:51], exec
	s_and_b64 s[54:55], s[54:55], exec
	s_mov_b64 vcc, -1
	s_or_b64 s[50:51], s[50:51], s[54:55]
	s_and_saveexec_b64 s[54:55], s[52:53]
	s_cbranch_execz .LBB12_710
; %bb.714:                              ;   in Loop: Header=BB12_711 Depth=2
	s_sleep 1
	s_trap 2
	ds_read_b64 v[2:3], v0
	s_andn2_b64 s[50:51], s[50:51], exec
	s_waitcnt lgkmcnt(0)
	v_cmp_ge_u64_e32 vcc, v[2:3], v[26:27]
	s_orn2_b64 vcc, vcc, exec
	s_branch .LBB12_710
.LBB12_715:                             ;   in Loop: Header=BB12_659 Depth=1
	s_or_b64 exec, exec, s[46:47]
	s_and_saveexec_b64 vcc, s[48:49]
	s_xor_b64 vcc, exec, vcc
	s_cbranch_execz .LBB12_717
; %bb.716:                              ;   in Loop: Header=BB12_659 Depth=1
	v_mov_b32_e32 v1, 1
	ds_write_b32 v0, v1
	s_trap 2
.LBB12_717:                             ;   in Loop: Header=BB12_659 Depth=1
	s_or_b64 exec, exec, s[44:45]
	;;#ASMSTART
	s_wakeup
	;;#ASMEND
.LBB12_718:                             ;   in Loop: Header=BB12_659 Depth=1
	s_or_b64 exec, exec, s[22:23]
.LBB12_719:                             ;   in Loop: Header=BB12_659 Depth=1
	s_andn2_saveexec_b64 s[20:21], s[20:21]
	s_cbranch_execz .LBB12_721
; %bb.720:                              ;   in Loop: Header=BB12_659 Depth=1
	s_waitcnt vmcnt(0) lgkmcnt(0)
	buffer_wbinvl1_vol
	s_barrier
.LBB12_721:                             ;   in Loop: Header=BB12_659 Depth=1
	s_or_b64 exec, exec, s[20:21]
.LBB12_722:                             ;   in Loop: Header=BB12_659 Depth=1
	s_or_b64 exec, exec, s[18:19]
	s_trap 2
	s_waitcnt lgkmcnt(0)
	ds_read_b64 v[2:3], v0
	v_accvgpr_read_b32 v4, a42
	v_min_u32_e32 v22, v22, v4
	s_waitcnt lgkmcnt(0)
	v_readfirstlane_b32 s18, v2
	v_readfirstlane_b32 s19, v3
	s_cmp_eq_u64 s[18:19], 0
	s_cselect_b64 s[18:19], -1, 0
	s_or_b64 s[20:21], s[18:19], s[18:19]
	s_mov_b64 s[18:19], 0
	s_and_b64 vcc, exec, s[20:21]
	s_cbranch_vccnz .LBB12_1180
; %bb.723:                              ;   in Loop: Header=BB12_659 Depth=1
	s_mov_b64 s[18:19], -1
	s_and_saveexec_b64 s[20:21], s[14:15]
	s_cbranch_execz .LBB12_725
; %bb.724:                              ;   in Loop: Header=BB12_659 Depth=1
	ds_read_b32 v1, v0 offset:720
	s_waitcnt lgkmcnt(0)
	v_and_b32_e32 v1, 15, v1
	v_cmp_eq_u32_e32 vcc, 0, v1
	s_orn2_b64 s[18:19], vcc, exec
.LBB12_725:                             ;   in Loop: Header=BB12_659 Depth=1
	s_or_b64 exec, exec, s[20:21]
	s_and_saveexec_b64 s[20:21], s[16:17]
	s_cbranch_execz .LBB12_727
; %bb.726:                              ;   in Loop: Header=BB12_659 Depth=1
	ds_read_b32 v1, v0 offset:784
	s_waitcnt lgkmcnt(0)
	v_and_b32_e32 v1, 15, v1
	v_cmp_eq_u32_e32 vcc, 0, v1
	s_and_b64 s[22:23], s[18:19], vcc
	s_andn2_b64 s[18:19], s[18:19], exec
	s_and_b64 s[22:23], s[22:23], exec
	s_or_b64 s[18:19], s[18:19], s[22:23]
.LBB12_727:                             ;   in Loop: Header=BB12_659 Depth=1
	s_or_b64 exec, exec, s[20:21]
	s_xor_b64 s[18:19], s[18:19], -1
	v_cmp_eq_u32_e32 vcc, 0, v0
	v_cndmask_b32_e64 v0, 0, 1, s[18:19]
	;;#ASMSTART
	;;#ASMEND
	s_trap 2
	ds_read_b64 v[2:3], v0
	v_cndmask_b32_e32 v28, 0, v22, vcc
	v_mov_b32_e32 v14, 0
	v_lshlrev_b32_e32 v32, 1, v28
	s_mov_b64 s[18:19], -1
	v_cmp_ne_u32_e32 vcc, 0, v0
	s_cbranch_vccz .LBB12_729
; %bb.728:                              ;   in Loop: Header=BB12_659 Depth=1
	s_waitcnt lgkmcnt(0)
	v_accvgpr_write_b32 a47, v3
	v_accvgpr_write_b32 a46, v2
	v_mov_b32_e32 v15, v37
	v_mov_b32_e32 v0, v34
	s_and_saveexec_b64 s[22:23], s[18:19]
	s_cbranch_execnz .LBB12_1047
	s_branch .LBB12_1179
.LBB12_729:                             ;   in Loop: Header=BB12_659 Depth=1
	v_lshrrev_b32_e32 v0, 10, v28
	v_accvgpr_write_b32 a45, v0
	v_sub_u32_e32 v45, v0, v34
	v_accvgpr_read_b32 v0, a24
	s_waitcnt lgkmcnt(0)
	v_add_co_u32_e32 v0, vcc, v2, v0
	v_accvgpr_read_b32 v1, a23
	v_accvgpr_write_b32 a4, v26
	v_accvgpr_write_b32 a10, v48
	;; [unrolled: 1-line block ×3, first 2 shown]
	v_addc_co_u32_e32 v1, vcc, v3, v1, vcc
	v_accvgpr_write_b32 a39, v22
	v_accvgpr_write_b32 a5, v27
	;; [unrolled: 1-line block ×6, first 2 shown]
	v_cmp_lt_i32_e32 vcc, 0, v45
	s_mov_b64 s[20:21], 0
                                        ; implicit-def: $vgpr22_vgpr23
                                        ; implicit-def: $vgpr18_vgpr19
                                        ; implicit-def: $vgpr14_vgpr15
                                        ; implicit-def: $vgpr10_vgpr11
	s_and_saveexec_b64 s[18:19], vcc
	s_cbranch_execz .LBB12_865
; %bb.730:                              ;   in Loop: Header=BB12_659 Depth=1
	s_trap 2
	ds_read_b128 v[2:5], v0
	v_accvgpr_read_b32 v6, a24
	v_accvgpr_read_b32 v7, a23
	v_accvgpr_write_b32 a44, v32
	v_accvgpr_write_b32 a43, v28
	s_waitcnt lgkmcnt(0)
	v_add_co_u32_e32 v2, vcc, v2, v6
	v_addc_co_u32_e32 v3, vcc, v3, v7, vcc
	v_add_co_u32_e32 v56, vcc, v4, v6
	v_mov_b32_e32 v9, v29
	v_addc_co_u32_e32 v57, vcc, v5, v7, vcc
	s_mov_b64 s[44:45], 0
                                        ; implicit-def: $sgpr22_sgpr23
                                        ; implicit-def: $vgpr12_vgpr13
                                        ; implicit-def: $vgpr16_vgpr17
                                        ; implicit-def: $vgpr20_vgpr21
                                        ; implicit-def: $vgpr24_vgpr25
	s_branch .LBB12_732
.LBB12_731:                             ;   in Loop: Header=BB12_732 Depth=2
	s_or_b64 exec, exec, s[46:47]
	v_lshrrev_b32_e32 v2, 16, v44
	v_and_or_b32 v43, v49, s67, v2
	v_lshrrev_b32_e32 v2, 16, v58
	v_and_or_b32 v42, v48, s67, v2
	;; [unrolled: 2-line block ×8, first 2 shown]
	global_store_dwordx4 v[0:1], v[42:45], off glc slc
	global_store_dwordx4 v[0:1], v[2:5], off offset:1024 glc slc
	v_mov_b32_e32 v43, v27
	v_accvgpr_read_b32 v4, a26
	v_add_co_u32_e32 v2, vcc, v40, v4
	v_accvgpr_read_b32 v5, a25
	v_addc_co_u32_e32 v3, vcc, v41, v5, vcc
	v_add_co_u32_e32 v4, vcc, v56, v4
	v_mov_b32_e32 v7, 0x800
	v_addc_co_u32_e32 v5, vcc, v57, v5, vcc
	v_accvgpr_read_b32 v6, a27
	v_cndmask_b32_e64 v7, v7, v43, s[44:45]
	v_mov_b32_e32 v42, v26
	v_cndmask_b32_e64 v6, 0, v6, s[44:45]
	v_add_co_u32_e32 v0, vcc, v0, v7
	v_cndmask_b32_e64 v56, v56, v4, s[44:45]
	v_cndmask_b32_e64 v4, 0, v42, s[44:45]
	v_addc_co_u32_e32 v1, vcc, v1, v6, vcc
	v_sub_u32_e32 v45, v8, v4
	v_cmp_gt_i32_e32 vcc, 1, v45
	s_or_b64 s[20:21], vcc, s[20:21]
	s_andn2_b64 s[22:23], s[22:23], exec
	s_and_b64 vcc, s[44:45], exec
	v_cndmask_b32_e64 v3, v41, v3, s[44:45]
	v_cndmask_b32_e64 v2, v40, v2, s[44:45]
	;; [unrolled: 1-line block ×3, first 2 shown]
	s_or_b64 s[22:23], s[22:23], vcc
	s_andn2_b64 exec, exec, s[20:21]
	s_cbranch_execz .LBB12_864
.LBB12_732:                             ;   Parent Loop BB12_659 Depth=1
                                        ; =>  This Inner Loop Header: Depth=2
	global_load_dwordx4 v[48:51], v[2:3], off glc slc
	global_load_dwordx4 v[32:35], v[2:3], off offset:1024 glc slc
	global_load_dwordx4 v[36:39], v[56:57], off glc slc
	global_load_dwordx4 v[26:29], v[56:57], off offset:1024 glc slc
	s_and_saveexec_b64 s[46:47], s[44:45]
	s_cbranch_execz .LBB12_798
; %bb.733:                              ;   in Loop: Header=BB12_732 Depth=2
	v_lshlrev_b32_e32 v4, 16, v22
	v_lshlrev_b32_e32 v6, 16, v18
	v_pk_add_f32 v[40:41], v[4:5], v[6:7] op_sel_hi:[0,1]
	v_and_b32_e32 v4, 0x7f800000, v40
	v_cmp_ne_u32_e32 vcc, s65, v4
                                        ; implicit-def: $vgpr58
	s_and_saveexec_b64 s[44:45], vcc
	s_xor_b64 vcc, exec, s[44:45]
; %bb.734:                              ;   in Loop: Header=BB12_732 Depth=2
	v_bfe_u32 v4, v40, 16, 1
	v_add3_u32 v58, v40, v4, s66
                                        ; implicit-def: $vgpr40_vgpr41
; %bb.735:                              ;   in Loop: Header=BB12_732 Depth=2
	s_andn2_saveexec_b64 s[44:45], vcc
; %bb.736:                              ;   in Loop: Header=BB12_732 Depth=2
	v_or_b32_e32 v4, 0x10000, v40
	v_cmp_eq_u32_sdwa vcc, v40, v55 src0_sel:WORD_0 src1_sel:DWORD
	v_cndmask_b32_e32 v58, v4, v40, vcc
; %bb.737:                              ;   in Loop: Header=BB12_732 Depth=2
	s_or_b64 exec, exec, s[44:45]
	v_mov_b32_e32 v4, v18
	v_mov_b32_e32 v5, v22
	v_and_b32_e32 v6, 0xffff0000, v5
	v_and_b32_e32 v4, 0xffff0000, v4
	v_pk_add_f32 v[40:41], v[6:7], v[4:5] op_sel_hi:[0,1]
	v_and_b32_e32 v4, 0x7f800000, v40
	v_cmp_ne_u32_e32 vcc, s65, v4
                                        ; implicit-def: $vgpr59
	s_and_saveexec_b64 s[44:45], vcc
	s_xor_b64 vcc, exec, s[44:45]
; %bb.738:                              ;   in Loop: Header=BB12_732 Depth=2
	v_bfe_u32 v4, v40, 16, 1
	v_add3_u32 v59, v40, v4, s66
                                        ; implicit-def: $vgpr40_vgpr41
; %bb.739:                              ;   in Loop: Header=BB12_732 Depth=2
	s_andn2_saveexec_b64 s[44:45], vcc
; %bb.740:                              ;   in Loop: Header=BB12_732 Depth=2
	v_or_b32_e32 v4, 0x10000, v40
	v_cmp_eq_u32_sdwa vcc, v40, v55 src0_sel:WORD_0 src1_sel:DWORD
	v_cndmask_b32_e32 v59, v4, v40, vcc
; %bb.741:                              ;   in Loop: Header=BB12_732 Depth=2
	s_or_b64 exec, exec, s[44:45]
	v_lshlrev_b32_e32 v4, 16, v23
	v_lshlrev_b32_e32 v6, 16, v19
	v_pk_add_f32 v[40:41], v[4:5], v[6:7] op_sel_hi:[0,1]
	v_and_b32_e32 v4, 0x7f800000, v40
	v_cmp_ne_u32_e32 vcc, s65, v4
                                        ; implicit-def: $vgpr44
	s_and_saveexec_b64 s[44:45], vcc
	s_xor_b64 vcc, exec, s[44:45]
; %bb.742:                              ;   in Loop: Header=BB12_732 Depth=2
	v_bfe_u32 v4, v40, 16, 1
	v_add3_u32 v44, v40, v4, s66
                                        ; implicit-def: $vgpr40_vgpr41
; %bb.743:                              ;   in Loop: Header=BB12_732 Depth=2
	s_andn2_saveexec_b64 s[44:45], vcc
; %bb.744:                              ;   in Loop: Header=BB12_732 Depth=2
	v_or_b32_e32 v4, 0x10000, v40
	v_cmp_eq_u32_sdwa vcc, v40, v55 src0_sel:WORD_0 src1_sel:DWORD
	v_cndmask_b32_e32 v44, v4, v40, vcc
; %bb.745:                              ;   in Loop: Header=BB12_732 Depth=2
	s_or_b64 exec, exec, s[44:45]
	v_mov_b32_e32 v4, v19
	v_and_b32_e32 v6, 0xffff0000, v23
	v_and_b32_e32 v4, 0xffff0000, v4
	v_pk_add_f32 v[22:23], v[6:7], v[4:5] op_sel_hi:[0,1]
	v_and_b32_e32 v4, 0x7f800000, v22
	v_cmp_ne_u32_e32 vcc, s65, v4
                                        ; implicit-def: $vgpr40
	s_and_saveexec_b64 s[44:45], vcc
	s_xor_b64 vcc, exec, s[44:45]
; %bb.746:                              ;   in Loop: Header=BB12_732 Depth=2
	v_bfe_u32 v4, v22, 16, 1
	v_add3_u32 v40, v22, v4, s66
                                        ; implicit-def: $vgpr22_vgpr23
; %bb.747:                              ;   in Loop: Header=BB12_732 Depth=2
	s_andn2_saveexec_b64 s[44:45], vcc
; %bb.748:                              ;   in Loop: Header=BB12_732 Depth=2
	v_or_b32_e32 v4, 0x10000, v22
	v_cmp_eq_u32_sdwa vcc, v22, v55 src0_sel:WORD_0 src1_sel:DWORD
	v_cndmask_b32_e32 v40, v4, v22, vcc
; %bb.749:                              ;   in Loop: Header=BB12_732 Depth=2
	s_or_b64 exec, exec, s[44:45]
	v_lshlrev_b32_e32 v4, 16, v24
	v_lshlrev_b32_e32 v6, 16, v20
	v_pk_add_f32 v[22:23], v[4:5], v[6:7] op_sel_hi:[0,1]
	v_and_b32_e32 v4, 0x7f800000, v22
	v_cmp_ne_u32_e32 vcc, s65, v4
                                        ; implicit-def: $vgpr41
	s_and_saveexec_b64 s[44:45], vcc
	s_xor_b64 vcc, exec, s[44:45]
; %bb.750:                              ;   in Loop: Header=BB12_732 Depth=2
	v_bfe_u32 v4, v22, 16, 1
	v_add3_u32 v41, v22, v4, s66
                                        ; implicit-def: $vgpr22_vgpr23
; %bb.751:                              ;   in Loop: Header=BB12_732 Depth=2
	s_andn2_saveexec_b64 s[44:45], vcc
; %bb.752:                              ;   in Loop: Header=BB12_732 Depth=2
	v_or_b32_e32 v4, 0x10000, v22
	v_cmp_eq_u32_sdwa vcc, v22, v55 src0_sel:WORD_0 src1_sel:DWORD
	v_cndmask_b32_e32 v41, v4, v22, vcc
; %bb.753:                              ;   in Loop: Header=BB12_732 Depth=2
	s_or_b64 exec, exec, s[44:45]
	v_mov_b32_e32 v4, v20
	v_mov_b32_e32 v5, v24
	v_and_b32_e32 v6, 0xffff0000, v5
	v_and_b32_e32 v4, 0xffff0000, v4
	v_pk_add_f32 v[22:23], v[6:7], v[4:5] op_sel_hi:[0,1]
	v_and_b32_e32 v4, 0x7f800000, v22
	v_cmp_ne_u32_e32 vcc, s65, v4
                                        ; implicit-def: $vgpr24
	s_and_saveexec_b64 s[44:45], vcc
	s_xor_b64 vcc, exec, s[44:45]
; %bb.754:                              ;   in Loop: Header=BB12_732 Depth=2
	v_bfe_u32 v4, v22, 16, 1
	v_add3_u32 v24, v22, v4, s66
                                        ; implicit-def: $vgpr22_vgpr23
; %bb.755:                              ;   in Loop: Header=BB12_732 Depth=2
	s_andn2_saveexec_b64 s[44:45], vcc
; %bb.756:                              ;   in Loop: Header=BB12_732 Depth=2
	v_or_b32_e32 v4, 0x10000, v22
	v_cmp_eq_u32_sdwa vcc, v22, v55 src0_sel:WORD_0 src1_sel:DWORD
	v_cndmask_b32_e32 v24, v4, v22, vcc
; %bb.757:                              ;   in Loop: Header=BB12_732 Depth=2
	s_or_b64 exec, exec, s[44:45]
	v_lshlrev_b32_e32 v4, 16, v25
	v_lshlrev_b32_e32 v6, 16, v21
	v_pk_add_f32 v[22:23], v[4:5], v[6:7] op_sel_hi:[0,1]
	v_and_b32_e32 v4, 0x7f800000, v22
	v_cmp_ne_u32_e32 vcc, s65, v4
                                        ; implicit-def: $vgpr54
	s_and_saveexec_b64 s[44:45], vcc
	s_xor_b64 vcc, exec, s[44:45]
; %bb.758:                              ;   in Loop: Header=BB12_732 Depth=2
	v_bfe_u32 v4, v22, 16, 1
	v_add3_u32 v54, v22, v4, s66
                                        ; implicit-def: $vgpr22_vgpr23
; %bb.759:                              ;   in Loop: Header=BB12_732 Depth=2
	s_andn2_saveexec_b64 s[44:45], vcc
; %bb.760:                              ;   in Loop: Header=BB12_732 Depth=2
	v_or_b32_e32 v4, 0x10000, v22
	v_cmp_eq_u32_sdwa vcc, v22, v55 src0_sel:WORD_0 src1_sel:DWORD
	v_cndmask_b32_e32 v54, v4, v22, vcc
; %bb.761:                              ;   in Loop: Header=BB12_732 Depth=2
	s_or_b64 exec, exec, s[44:45]
	v_mov_b32_e32 v4, v21
	v_and_b32_e32 v6, 0xffff0000, v25
	v_and_b32_e32 v4, 0xffff0000, v4
	v_pk_add_f32 v[22:23], v[6:7], v[4:5] op_sel_hi:[0,1]
	v_and_b32_e32 v4, 0x7f800000, v22
	v_cmp_ne_u32_e32 vcc, s65, v4
                                        ; implicit-def: $vgpr25
	s_and_saveexec_b64 s[44:45], vcc
	s_xor_b64 vcc, exec, s[44:45]
; %bb.762:                              ;   in Loop: Header=BB12_732 Depth=2
	v_bfe_u32 v4, v22, 16, 1
	v_add3_u32 v25, v22, v4, s66
                                        ; implicit-def: $vgpr22_vgpr23
; %bb.763:                              ;   in Loop: Header=BB12_732 Depth=2
	s_andn2_saveexec_b64 s[44:45], vcc
; %bb.764:                              ;   in Loop: Header=BB12_732 Depth=2
	v_or_b32_e32 v4, 0x10000, v22
	v_cmp_eq_u32_sdwa vcc, v22, v55 src0_sel:WORD_0 src1_sel:DWORD
	v_cndmask_b32_e32 v25, v4, v22, vcc
; %bb.765:                              ;   in Loop: Header=BB12_732 Depth=2
	s_or_b64 exec, exec, s[44:45]
	v_lshlrev_b32_e32 v4, 16, v14
	v_lshlrev_b32_e32 v6, 16, v10
	v_pk_add_f32 v[22:23], v[4:5], v[6:7] op_sel_hi:[0,1]
	v_and_b32_e32 v4, 0x7f800000, v22
	v_cmp_ne_u32_e32 vcc, s65, v4
                                        ; implicit-def: $vgpr53
	s_and_saveexec_b64 s[44:45], vcc
	s_xor_b64 vcc, exec, s[44:45]
; %bb.766:                              ;   in Loop: Header=BB12_732 Depth=2
	v_bfe_u32 v4, v22, 16, 1
	v_add3_u32 v53, v22, v4, s66
                                        ; implicit-def: $vgpr22_vgpr23
; %bb.767:                              ;   in Loop: Header=BB12_732 Depth=2
	s_andn2_saveexec_b64 s[44:45], vcc
; %bb.768:                              ;   in Loop: Header=BB12_732 Depth=2
	v_or_b32_e32 v4, 0x10000, v22
	v_cmp_eq_u32_sdwa vcc, v22, v55 src0_sel:WORD_0 src1_sel:DWORD
	v_cndmask_b32_e32 v53, v4, v22, vcc
; %bb.769:                              ;   in Loop: Header=BB12_732 Depth=2
	s_or_b64 exec, exec, s[44:45]
	v_mov_b32_e32 v4, v10
	v_mov_b32_e32 v5, v14
	v_and_b32_e32 v6, 0xffff0000, v5
	v_and_b32_e32 v4, 0xffff0000, v4
	v_pk_add_f32 v[22:23], v[6:7], v[4:5] op_sel_hi:[0,1]
	v_and_b32_e32 v4, 0x7f800000, v22
	v_cmp_ne_u32_e32 vcc, s65, v4
                                        ; implicit-def: $vgpr4
	s_and_saveexec_b64 s[44:45], vcc
	s_xor_b64 vcc, exec, s[44:45]
; %bb.770:                              ;   in Loop: Header=BB12_732 Depth=2
	v_bfe_u32 v4, v22, 16, 1
	v_add3_u32 v4, v22, v4, s66
                                        ; implicit-def: $vgpr22_vgpr23
; %bb.771:                              ;   in Loop: Header=BB12_732 Depth=2
	s_andn2_saveexec_b64 s[44:45], vcc
; %bb.772:                              ;   in Loop: Header=BB12_732 Depth=2
	v_or_b32_e32 v4, 0x10000, v22
	v_cmp_eq_u32_sdwa vcc, v22, v55 src0_sel:WORD_0 src1_sel:DWORD
	v_cndmask_b32_e32 v4, v4, v22, vcc
; %bb.773:                              ;   in Loop: Header=BB12_732 Depth=2
	s_or_b64 exec, exec, s[44:45]
	v_lshlrev_b32_e32 v6, 16, v15
	v_lshlrev_b32_e32 v8, 16, v11
	v_pk_add_f32 v[22:23], v[6:7], v[8:9] op_sel_hi:[0,1]
	v_and_b32_e32 v5, 0x7f800000, v22
	v_cmp_ne_u32_e32 vcc, s65, v5
                                        ; implicit-def: $vgpr5
	s_and_saveexec_b64 s[44:45], vcc
	s_xor_b64 vcc, exec, s[44:45]
; %bb.774:                              ;   in Loop: Header=BB12_732 Depth=2
	v_bfe_u32 v5, v22, 16, 1
	v_add3_u32 v5, v22, v5, s66
                                        ; implicit-def: $vgpr22_vgpr23
; %bb.775:                              ;   in Loop: Header=BB12_732 Depth=2
	s_andn2_saveexec_b64 s[44:45], vcc
; %bb.776:                              ;   in Loop: Header=BB12_732 Depth=2
	v_or_b32_e32 v5, 0x10000, v22
	v_cmp_eq_u32_sdwa vcc, v22, v55 src0_sel:WORD_0 src1_sel:DWORD
	v_cndmask_b32_e32 v5, v5, v22, vcc
; %bb.777:                              ;   in Loop: Header=BB12_732 Depth=2
	s_or_b64 exec, exec, s[44:45]
	v_mov_b32_e32 v6, v11
	v_and_b32_e32 v8, 0xffff0000, v15
	v_and_b32_e32 v6, 0xffff0000, v6
	v_pk_add_f32 v[14:15], v[8:9], v[6:7] op_sel_hi:[0,1]
	v_and_b32_e32 v6, 0x7f800000, v14
	v_cmp_ne_u32_e32 vcc, s65, v6
                                        ; implicit-def: $vgpr60
	s_and_saveexec_b64 s[44:45], vcc
	s_xor_b64 vcc, exec, s[44:45]
; %bb.778:                              ;   in Loop: Header=BB12_732 Depth=2
	v_bfe_u32 v6, v14, 16, 1
	v_add3_u32 v60, v14, v6, s66
                                        ; implicit-def: $vgpr14_vgpr15
; %bb.779:                              ;   in Loop: Header=BB12_732 Depth=2
	s_andn2_saveexec_b64 s[44:45], vcc
; %bb.780:                              ;   in Loop: Header=BB12_732 Depth=2
	v_or_b32_e32 v6, 0x10000, v14
	v_cmp_eq_u32_sdwa vcc, v14, v55 src0_sel:WORD_0 src1_sel:DWORD
	v_cndmask_b32_e32 v60, v6, v14, vcc
; %bb.781:                              ;   in Loop: Header=BB12_732 Depth=2
	s_or_b64 exec, exec, s[44:45]
	v_lshlrev_b32_e32 v6, 16, v16
	v_lshlrev_b32_e32 v8, 16, v12
	v_pk_add_f32 v[14:15], v[6:7], v[8:9] op_sel_hi:[0,1]
	v_and_b32_e32 v6, 0x7f800000, v14
	v_cmp_ne_u32_e32 vcc, s65, v6
                                        ; implicit-def: $vgpr52
	s_and_saveexec_b64 s[44:45], vcc
	s_xor_b64 vcc, exec, s[44:45]
; %bb.782:                              ;   in Loop: Header=BB12_732 Depth=2
	v_bfe_u32 v6, v14, 16, 1
	v_add3_u32 v52, v14, v6, s66
                                        ; implicit-def: $vgpr14_vgpr15
; %bb.783:                              ;   in Loop: Header=BB12_732 Depth=2
	s_andn2_saveexec_b64 s[44:45], vcc
; %bb.784:                              ;   in Loop: Header=BB12_732 Depth=2
	v_or_b32_e32 v6, 0x10000, v14
	v_cmp_eq_u32_sdwa vcc, v14, v55 src0_sel:WORD_0 src1_sel:DWORD
	v_cndmask_b32_e32 v52, v6, v14, vcc
; %bb.785:                              ;   in Loop: Header=BB12_732 Depth=2
	s_or_b64 exec, exec, s[44:45]
	v_mov_b32_e32 v6, v12
	v_mov_b32_e32 v7, v16
	v_and_b32_e32 v8, 0xffff0000, v7
	v_and_b32_e32 v6, 0xffff0000, v6
	v_pk_add_f32 v[14:15], v[8:9], v[6:7] op_sel_hi:[0,1]
	v_and_b32_e32 v6, 0x7f800000, v14
	v_cmp_ne_u32_e32 vcc, s65, v6
                                        ; implicit-def: $vgpr16
	s_and_saveexec_b64 s[44:45], vcc
	s_xor_b64 vcc, exec, s[44:45]
; %bb.786:                              ;   in Loop: Header=BB12_732 Depth=2
	v_bfe_u32 v6, v14, 16, 1
	v_add3_u32 v16, v14, v6, s66
                                        ; implicit-def: $vgpr14_vgpr15
; %bb.787:                              ;   in Loop: Header=BB12_732 Depth=2
	s_andn2_saveexec_b64 s[44:45], vcc
; %bb.788:                              ;   in Loop: Header=BB12_732 Depth=2
	v_or_b32_e32 v6, 0x10000, v14
	v_cmp_eq_u32_sdwa vcc, v14, v55 src0_sel:WORD_0 src1_sel:DWORD
	v_cndmask_b32_e32 v16, v6, v14, vcc
; %bb.789:                              ;   in Loop: Header=BB12_732 Depth=2
	s_or_b64 exec, exec, s[44:45]
	v_lshlrev_b32_e32 v6, 16, v17
	v_lshlrev_b32_e32 v8, 16, v13
	v_pk_add_f32 v[14:15], v[6:7], v[8:9] op_sel_hi:[0,1]
	v_and_b32_e32 v6, 0x7f800000, v14
	v_cmp_ne_u32_e32 vcc, s65, v6
                                        ; implicit-def: $vgpr6
	s_and_saveexec_b64 s[44:45], vcc
	s_xor_b64 vcc, exec, s[44:45]
; %bb.790:                              ;   in Loop: Header=BB12_732 Depth=2
	v_bfe_u32 v6, v14, 16, 1
	v_add3_u32 v6, v14, v6, s66
                                        ; implicit-def: $vgpr14_vgpr15
; %bb.791:                              ;   in Loop: Header=BB12_732 Depth=2
	s_andn2_saveexec_b64 s[44:45], vcc
; %bb.792:                              ;   in Loop: Header=BB12_732 Depth=2
	v_or_b32_e32 v6, 0x10000, v14
	v_cmp_eq_u32_sdwa vcc, v14, v55 src0_sel:WORD_0 src1_sel:DWORD
	v_cndmask_b32_e32 v6, v6, v14, vcc
; %bb.793:                              ;   in Loop: Header=BB12_732 Depth=2
	s_or_b64 exec, exec, s[44:45]
	v_mov_b32_e32 v8, v13
	v_and_b32_e32 v14, 0xffff0000, v17
	v_and_b32_e32 v8, 0xffff0000, v8
	v_pk_add_f32 v[14:15], v[14:15], v[8:9] op_sel_hi:[0,1]
	v_and_b32_e32 v7, 0x7f800000, v14
	v_cmp_ne_u32_e32 vcc, s65, v7
                                        ; implicit-def: $vgpr7
	s_and_saveexec_b64 s[44:45], vcc
	s_xor_b64 vcc, exec, s[44:45]
; %bb.794:                              ;   in Loop: Header=BB12_732 Depth=2
	v_bfe_u32 v7, v14, 16, 1
	v_add3_u32 v7, v14, v7, s66
                                        ; implicit-def: $vgpr14_vgpr15
; %bb.795:                              ;   in Loop: Header=BB12_732 Depth=2
	s_andn2_saveexec_b64 s[44:45], vcc
; %bb.796:                              ;   in Loop: Header=BB12_732 Depth=2
	v_or_b32_e32 v7, 0x10000, v14
	v_cmp_eq_u32_sdwa vcc, v14, v55 src0_sel:WORD_0 src1_sel:DWORD
	v_cndmask_b32_e32 v7, v7, v14, vcc
; %bb.797:                              ;   in Loop: Header=BB12_732 Depth=2
	s_or_b64 exec, exec, s[44:45]
	v_lshrrev_b32_e32 v8, 16, v44
	v_and_or_b32 v23, v40, s67, v8
	v_lshrrev_b32_e32 v8, 16, v58
	v_lshrrev_b32_e32 v5, 16, v5
	v_and_or_b32 v22, v59, s67, v8
	v_lshrrev_b32_e32 v8, 16, v41
	v_and_or_b32 v15, v60, s67, v5
	;; [unrolled: 2-line block ×5, first 2 shown]
	v_and_or_b32 v16, v16, s67, v4
	v_lshrrev_b32_e32 v4, 16, v6
	v_and_or_b32 v17, v7, s67, v4
	global_store_dwordx4 v[0:1], v[22:25], off glc slc
	global_store_dwordx4 v[0:1], v[14:17], off offset:1024 glc slc
	v_add_co_u32_e32 v0, vcc, v0, v43
	v_accvgpr_read_b32 v4, a27
	v_addc_co_u32_e32 v1, vcc, v1, v4, vcc
.LBB12_798:                             ;   in Loop: Header=BB12_732 Depth=2
	s_or_b64 exec, exec, s[46:47]
	v_add_co_u32_e32 v40, vcc, v2, v43
	v_accvgpr_read_b32 v2, a27
	v_addc_co_u32_e32 v41, vcc, v3, v2, vcc
	v_add_co_u32_e32 v56, vcc, v56, v43
	v_sub_u32_e32 v8, v45, v42
	v_addc_co_u32_e32 v57, vcc, v57, v2, vcc
	v_cmp_lt_i32_e64 s[44:45], 0, v8
	s_and_saveexec_b64 s[46:47], s[44:45]
	s_cbranch_execz .LBB12_800
; %bb.799:                              ;   in Loop: Header=BB12_732 Depth=2
	global_load_dwordx4 v[22:25], v[40:41], off glc slc
	global_load_dwordx4 v[14:17], v[40:41], off offset:1024 glc slc
	global_load_dwordx4 v[18:21], v[56:57], off glc slc
	global_load_dwordx4 v[10:13], v[56:57], off offset:1024 glc slc
	v_add_co_u32_e32 v40, vcc, s61, v40
	v_addc_co_u32_e32 v41, vcc, 0, v41, vcc
	v_add_co_u32_e32 v56, vcc, 0x800, v56
	v_addc_co_u32_e32 v57, vcc, 0, v57, vcc
.LBB12_800:                             ;   in Loop: Header=BB12_732 Depth=2
	s_or_b64 exec, exec, s[46:47]
	s_waitcnt vmcnt(0)
	v_lshlrev_b32_e32 v2, 16, v36
	v_lshlrev_b32_e32 v4, 16, v48
	v_pk_add_f32 v[2:3], v[2:3], v[4:5] op_sel_hi:[0,1]
	v_and_b32_e32 v3, 0x7f800000, v2
	v_cmp_ne_u32_e32 vcc, s65, v3
                                        ; implicit-def: $vgpr58
	s_and_saveexec_b64 s[46:47], vcc
	s_xor_b64 vcc, exec, s[46:47]
; %bb.801:                              ;   in Loop: Header=BB12_732 Depth=2
	v_bfe_u32 v3, v2, 16, 1
	v_add3_u32 v58, v2, v3, s66
                                        ; implicit-def: $vgpr2_vgpr3
; %bb.802:                              ;   in Loop: Header=BB12_732 Depth=2
	s_andn2_saveexec_b64 s[46:47], vcc
; %bb.803:                              ;   in Loop: Header=BB12_732 Depth=2
	v_or_b32_e32 v3, 0x10000, v2
	v_cmp_eq_u32_sdwa vcc, v2, v55 src0_sel:WORD_0 src1_sel:DWORD
	v_cndmask_b32_e32 v58, v3, v2, vcc
; %bb.804:                              ;   in Loop: Header=BB12_732 Depth=2
	s_or_b64 exec, exec, s[46:47]
	v_and_b32_e32 v2, 0xffff0000, v36
	v_and_b32_e32 v4, 0xffff0000, v48
	v_pk_add_f32 v[2:3], v[2:3], v[4:5] op_sel_hi:[0,1]
	v_and_b32_e32 v3, 0x7f800000, v2
	v_cmp_ne_u32_e32 vcc, s65, v3
                                        ; implicit-def: $vgpr48
	s_and_saveexec_b64 s[46:47], vcc
	s_xor_b64 vcc, exec, s[46:47]
; %bb.805:                              ;   in Loop: Header=BB12_732 Depth=2
	v_bfe_u32 v3, v2, 16, 1
	v_add3_u32 v48, v2, v3, s66
                                        ; implicit-def: $vgpr2_vgpr3
; %bb.806:                              ;   in Loop: Header=BB12_732 Depth=2
	s_andn2_saveexec_b64 s[46:47], vcc
; %bb.807:                              ;   in Loop: Header=BB12_732 Depth=2
	v_or_b32_e32 v3, 0x10000, v2
	v_cmp_eq_u32_sdwa vcc, v2, v55 src0_sel:WORD_0 src1_sel:DWORD
	v_cndmask_b32_e32 v48, v3, v2, vcc
; %bb.808:                              ;   in Loop: Header=BB12_732 Depth=2
	s_or_b64 exec, exec, s[46:47]
	v_mov_b32_e32 v3, v37
	v_lshlrev_b32_e32 v2, 16, v3
	v_lshlrev_b32_e32 v4, 16, v49
	v_pk_add_f32 v[36:37], v[2:3], v[4:5] op_sel_hi:[0,1]
	v_and_b32_e32 v2, 0x7f800000, v36
	v_cmp_ne_u32_e32 vcc, s65, v2
                                        ; implicit-def: $vgpr44
	s_and_saveexec_b64 s[46:47], vcc
	s_xor_b64 vcc, exec, s[46:47]
; %bb.809:                              ;   in Loop: Header=BB12_732 Depth=2
	v_bfe_u32 v2, v36, 16, 1
	v_add3_u32 v44, v36, v2, s66
                                        ; implicit-def: $vgpr36_vgpr37
; %bb.810:                              ;   in Loop: Header=BB12_732 Depth=2
	s_andn2_saveexec_b64 s[46:47], vcc
; %bb.811:                              ;   in Loop: Header=BB12_732 Depth=2
	v_or_b32_e32 v2, 0x10000, v36
	v_cmp_eq_u32_sdwa vcc, v36, v55 src0_sel:WORD_0 src1_sel:DWORD
	v_cndmask_b32_e32 v44, v2, v36, vcc
; %bb.812:                              ;   in Loop: Header=BB12_732 Depth=2
	s_or_b64 exec, exec, s[46:47]
	v_and_b32_e32 v2, 0xffff0000, v3
	v_and_b32_e32 v4, 0xffff0000, v49
	v_pk_add_f32 v[2:3], v[2:3], v[4:5] op_sel_hi:[0,1]
	v_and_b32_e32 v3, 0x7f800000, v2
	v_cmp_ne_u32_e32 vcc, s65, v3
                                        ; implicit-def: $vgpr49
	s_and_saveexec_b64 s[46:47], vcc
	s_xor_b64 vcc, exec, s[46:47]
; %bb.813:                              ;   in Loop: Header=BB12_732 Depth=2
	v_bfe_u32 v3, v2, 16, 1
	v_add3_u32 v49, v2, v3, s66
                                        ; implicit-def: $vgpr2_vgpr3
; %bb.814:                              ;   in Loop: Header=BB12_732 Depth=2
	s_andn2_saveexec_b64 s[46:47], vcc
; %bb.815:                              ;   in Loop: Header=BB12_732 Depth=2
	v_or_b32_e32 v3, 0x10000, v2
	v_cmp_eq_u32_sdwa vcc, v2, v55 src0_sel:WORD_0 src1_sel:DWORD
	v_cndmask_b32_e32 v49, v3, v2, vcc
; %bb.816:                              ;   in Loop: Header=BB12_732 Depth=2
	s_or_b64 exec, exec, s[46:47]
	v_lshlrev_b32_e32 v2, 16, v38
	v_lshlrev_b32_e32 v4, 16, v50
	v_pk_add_f32 v[2:3], v[2:3], v[4:5] op_sel_hi:[0,1]
	v_and_b32_e32 v3, 0x7f800000, v2
	v_cmp_ne_u32_e32 vcc, s65, v3
                                        ; implicit-def: $vgpr59
	s_and_saveexec_b64 s[46:47], vcc
	s_xor_b64 vcc, exec, s[46:47]
; %bb.817:                              ;   in Loop: Header=BB12_732 Depth=2
	v_bfe_u32 v3, v2, 16, 1
	v_add3_u32 v59, v2, v3, s66
                                        ; implicit-def: $vgpr2_vgpr3
; %bb.818:                              ;   in Loop: Header=BB12_732 Depth=2
	s_andn2_saveexec_b64 s[46:47], vcc
; %bb.819:                              ;   in Loop: Header=BB12_732 Depth=2
	v_or_b32_e32 v3, 0x10000, v2
	v_cmp_eq_u32_sdwa vcc, v2, v55 src0_sel:WORD_0 src1_sel:DWORD
	v_cndmask_b32_e32 v59, v3, v2, vcc
; %bb.820:                              ;   in Loop: Header=BB12_732 Depth=2
	s_or_b64 exec, exec, s[46:47]
	v_and_b32_e32 v2, 0xffff0000, v38
	v_and_b32_e32 v4, 0xffff0000, v50
	v_pk_add_f32 v[2:3], v[2:3], v[4:5] op_sel_hi:[0,1]
	v_and_b32_e32 v3, 0x7f800000, v2
	v_cmp_ne_u32_e32 vcc, s65, v3
                                        ; implicit-def: $vgpr38
	s_and_saveexec_b64 s[46:47], vcc
	s_xor_b64 vcc, exec, s[46:47]
; %bb.821:                              ;   in Loop: Header=BB12_732 Depth=2
	v_bfe_u32 v3, v2, 16, 1
	v_add3_u32 v38, v2, v3, s66
                                        ; implicit-def: $vgpr2_vgpr3
; %bb.822:                              ;   in Loop: Header=BB12_732 Depth=2
	s_andn2_saveexec_b64 s[46:47], vcc
; %bb.823:                              ;   in Loop: Header=BB12_732 Depth=2
	v_or_b32_e32 v3, 0x10000, v2
	v_cmp_eq_u32_sdwa vcc, v2, v55 src0_sel:WORD_0 src1_sel:DWORD
	v_cndmask_b32_e32 v38, v3, v2, vcc
; %bb.824:                              ;   in Loop: Header=BB12_732 Depth=2
	s_or_b64 exec, exec, s[46:47]
	v_mov_b32_e32 v3, v51
	v_lshlrev_b32_e32 v2, 16, v39
	v_lshlrev_b32_e32 v4, 16, v3
	v_pk_add_f32 v[36:37], v[2:3], v[4:5] op_sel_hi:[0,1]
	v_and_b32_e32 v2, 0x7f800000, v36
	v_cmp_ne_u32_e32 vcc, s65, v2
                                        ; implicit-def: $vgpr50
	s_and_saveexec_b64 s[46:47], vcc
	s_xor_b64 vcc, exec, s[46:47]
; %bb.825:                              ;   in Loop: Header=BB12_732 Depth=2
	v_bfe_u32 v2, v36, 16, 1
	v_add3_u32 v50, v36, v2, s66
                                        ; implicit-def: $vgpr36_vgpr37
; %bb.826:                              ;   in Loop: Header=BB12_732 Depth=2
	s_andn2_saveexec_b64 s[46:47], vcc
; %bb.827:                              ;   in Loop: Header=BB12_732 Depth=2
	v_or_b32_e32 v2, 0x10000, v36
	v_cmp_eq_u32_sdwa vcc, v36, v55 src0_sel:WORD_0 src1_sel:DWORD
	v_cndmask_b32_e32 v50, v2, v36, vcc
; %bb.828:                              ;   in Loop: Header=BB12_732 Depth=2
	s_or_b64 exec, exec, s[46:47]
	v_and_b32_e32 v2, 0xffff0000, v39
	v_and_b32_e32 v4, 0xffff0000, v3
	v_pk_add_f32 v[2:3], v[2:3], v[4:5] op_sel_hi:[0,1]
	v_and_b32_e32 v3, 0x7f800000, v2
	v_cmp_ne_u32_e32 vcc, s65, v3
                                        ; implicit-def: $vgpr36
	s_and_saveexec_b64 s[46:47], vcc
	s_xor_b64 vcc, exec, s[46:47]
; %bb.829:                              ;   in Loop: Header=BB12_732 Depth=2
	v_bfe_u32 v3, v2, 16, 1
	v_add3_u32 v36, v2, v3, s66
                                        ; implicit-def: $vgpr2_vgpr3
; %bb.830:                              ;   in Loop: Header=BB12_732 Depth=2
	s_andn2_saveexec_b64 s[46:47], vcc
; %bb.831:                              ;   in Loop: Header=BB12_732 Depth=2
	v_or_b32_e32 v3, 0x10000, v2
	v_cmp_eq_u32_sdwa vcc, v2, v55 src0_sel:WORD_0 src1_sel:DWORD
	v_cndmask_b32_e32 v36, v3, v2, vcc
; %bb.832:                              ;   in Loop: Header=BB12_732 Depth=2
	s_or_b64 exec, exec, s[46:47]
	s_waitcnt vmcnt(0)
	v_lshlrev_b32_e32 v2, 16, v26
	v_lshlrev_b32_e32 v4, 16, v32
	v_pk_add_f32 v[2:3], v[2:3], v[4:5] op_sel_hi:[0,1]
	v_and_b32_e32 v3, 0x7f800000, v2
	v_cmp_ne_u32_e32 vcc, s65, v3
                                        ; implicit-def: $vgpr37
	s_and_saveexec_b64 s[46:47], vcc
	s_xor_b64 vcc, exec, s[46:47]
; %bb.833:                              ;   in Loop: Header=BB12_732 Depth=2
	v_bfe_u32 v3, v2, 16, 1
	v_add3_u32 v37, v2, v3, s66
                                        ; implicit-def: $vgpr2_vgpr3
; %bb.834:                              ;   in Loop: Header=BB12_732 Depth=2
	s_andn2_saveexec_b64 s[46:47], vcc
; %bb.835:                              ;   in Loop: Header=BB12_732 Depth=2
	v_or_b32_e32 v3, 0x10000, v2
	v_cmp_eq_u32_sdwa vcc, v2, v55 src0_sel:WORD_0 src1_sel:DWORD
	v_cndmask_b32_e32 v37, v3, v2, vcc
; %bb.836:                              ;   in Loop: Header=BB12_732 Depth=2
	s_or_b64 exec, exec, s[46:47]
	v_and_b32_e32 v2, 0xffff0000, v26
	v_and_b32_e32 v4, 0xffff0000, v32
	v_pk_add_f32 v[2:3], v[2:3], v[4:5] op_sel_hi:[0,1]
	v_and_b32_e32 v3, 0x7f800000, v2
	v_cmp_ne_u32_e32 vcc, s65, v3
                                        ; implicit-def: $vgpr4
	s_and_saveexec_b64 s[46:47], vcc
	s_xor_b64 vcc, exec, s[46:47]
; %bb.837:                              ;   in Loop: Header=BB12_732 Depth=2
	v_bfe_u32 v3, v2, 16, 1
	v_add3_u32 v4, v2, v3, s66
                                        ; implicit-def: $vgpr2_vgpr3
; %bb.838:                              ;   in Loop: Header=BB12_732 Depth=2
	s_andn2_saveexec_b64 s[46:47], vcc
; %bb.839:                              ;   in Loop: Header=BB12_732 Depth=2
	v_or_b32_e32 v3, 0x10000, v2
	v_cmp_eq_u32_sdwa vcc, v2, v55 src0_sel:WORD_0 src1_sel:DWORD
	v_cndmask_b32_e32 v4, v3, v2, vcc
; %bb.840:                              ;   in Loop: Header=BB12_732 Depth=2
	s_or_b64 exec, exec, s[46:47]
	v_mov_b32_e32 v3, v27
	v_lshlrev_b32_e32 v2, 16, v3
	v_lshlrev_b32_e32 v6, 16, v33
	v_pk_add_f32 v[26:27], v[2:3], v[6:7] op_sel_hi:[0,1]
	v_and_b32_e32 v2, 0x7f800000, v26
	v_cmp_ne_u32_e32 vcc, s65, v2
                                        ; implicit-def: $vgpr5
	s_and_saveexec_b64 s[46:47], vcc
	s_xor_b64 vcc, exec, s[46:47]
; %bb.841:                              ;   in Loop: Header=BB12_732 Depth=2
	v_bfe_u32 v2, v26, 16, 1
	v_add3_u32 v5, v26, v2, s66
                                        ; implicit-def: $vgpr26_vgpr27
; %bb.842:                              ;   in Loop: Header=BB12_732 Depth=2
	s_andn2_saveexec_b64 s[46:47], vcc
; %bb.843:                              ;   in Loop: Header=BB12_732 Depth=2
	v_or_b32_e32 v2, 0x10000, v26
	v_cmp_eq_u32_sdwa vcc, v26, v55 src0_sel:WORD_0 src1_sel:DWORD
	v_cndmask_b32_e32 v5, v2, v26, vcc
; %bb.844:                              ;   in Loop: Header=BB12_732 Depth=2
	s_or_b64 exec, exec, s[46:47]
	v_and_b32_e32 v2, 0xffff0000, v3
	v_and_b32_e32 v6, 0xffff0000, v33
	v_pk_add_f32 v[2:3], v[2:3], v[6:7] op_sel_hi:[0,1]
	v_and_b32_e32 v3, 0x7f800000, v2
	v_cmp_ne_u32_e32 vcc, s65, v3
                                        ; implicit-def: $vgpr32
	s_and_saveexec_b64 s[46:47], vcc
	s_xor_b64 vcc, exec, s[46:47]
; %bb.845:                              ;   in Loop: Header=BB12_732 Depth=2
	v_bfe_u32 v3, v2, 16, 1
	v_add3_u32 v32, v2, v3, s66
                                        ; implicit-def: $vgpr2_vgpr3
; %bb.846:                              ;   in Loop: Header=BB12_732 Depth=2
	s_andn2_saveexec_b64 s[46:47], vcc
; %bb.847:                              ;   in Loop: Header=BB12_732 Depth=2
	v_or_b32_e32 v3, 0x10000, v2
	v_cmp_eq_u32_sdwa vcc, v2, v55 src0_sel:WORD_0 src1_sel:DWORD
	v_cndmask_b32_e32 v32, v3, v2, vcc
; %bb.848:                              ;   in Loop: Header=BB12_732 Depth=2
	s_or_b64 exec, exec, s[46:47]
	v_lshlrev_b32_e32 v2, 16, v28
	v_lshlrev_b32_e32 v6, 16, v34
	v_pk_add_f32 v[2:3], v[2:3], v[6:7] op_sel_hi:[0,1]
	v_and_b32_e32 v3, 0x7f800000, v2
	v_cmp_ne_u32_e32 vcc, s65, v3
                                        ; implicit-def: $vgpr33
	s_and_saveexec_b64 s[46:47], vcc
	s_xor_b64 vcc, exec, s[46:47]
; %bb.849:                              ;   in Loop: Header=BB12_732 Depth=2
	v_bfe_u32 v3, v2, 16, 1
	v_add3_u32 v33, v2, v3, s66
                                        ; implicit-def: $vgpr2_vgpr3
; %bb.850:                              ;   in Loop: Header=BB12_732 Depth=2
	s_andn2_saveexec_b64 s[46:47], vcc
; %bb.851:                              ;   in Loop: Header=BB12_732 Depth=2
	v_or_b32_e32 v3, 0x10000, v2
	v_cmp_eq_u32_sdwa vcc, v2, v55 src0_sel:WORD_0 src1_sel:DWORD
	v_cndmask_b32_e32 v33, v3, v2, vcc
; %bb.852:                              ;   in Loop: Header=BB12_732 Depth=2
	s_or_b64 exec, exec, s[46:47]
	v_and_b32_e32 v2, 0xffff0000, v28
	v_and_b32_e32 v6, 0xffff0000, v34
	v_pk_add_f32 v[2:3], v[2:3], v[6:7] op_sel_hi:[0,1]
	v_and_b32_e32 v3, 0x7f800000, v2
	v_cmp_ne_u32_e32 vcc, s65, v3
                                        ; implicit-def: $vgpr28
	s_and_saveexec_b64 s[46:47], vcc
	s_xor_b64 vcc, exec, s[46:47]
; %bb.853:                              ;   in Loop: Header=BB12_732 Depth=2
	v_bfe_u32 v3, v2, 16, 1
	v_add3_u32 v28, v2, v3, s66
                                        ; implicit-def: $vgpr2_vgpr3
; %bb.854:                              ;   in Loop: Header=BB12_732 Depth=2
	s_andn2_saveexec_b64 s[46:47], vcc
; %bb.855:                              ;   in Loop: Header=BB12_732 Depth=2
	v_or_b32_e32 v3, 0x10000, v2
	v_cmp_eq_u32_sdwa vcc, v2, v55 src0_sel:WORD_0 src1_sel:DWORD
	v_cndmask_b32_e32 v28, v3, v2, vcc
; %bb.856:                              ;   in Loop: Header=BB12_732 Depth=2
	s_or_b64 exec, exec, s[46:47]
	v_mov_b32_e32 v3, v35
	v_lshlrev_b32_e32 v2, 16, v29
	v_lshlrev_b32_e32 v6, 16, v3
	v_pk_add_f32 v[26:27], v[2:3], v[6:7] op_sel_hi:[0,1]
	v_and_b32_e32 v2, 0x7f800000, v26
	v_cmp_ne_u32_e32 vcc, s65, v2
                                        ; implicit-def: $vgpr6
	s_and_saveexec_b64 s[46:47], vcc
	s_xor_b64 vcc, exec, s[46:47]
; %bb.857:                              ;   in Loop: Header=BB12_732 Depth=2
	v_bfe_u32 v2, v26, 16, 1
	v_add3_u32 v6, v26, v2, s66
                                        ; implicit-def: $vgpr26_vgpr27
; %bb.858:                              ;   in Loop: Header=BB12_732 Depth=2
	s_andn2_saveexec_b64 s[46:47], vcc
; %bb.859:                              ;   in Loop: Header=BB12_732 Depth=2
	v_or_b32_e32 v2, 0x10000, v26
	v_cmp_eq_u32_sdwa vcc, v26, v55 src0_sel:WORD_0 src1_sel:DWORD
	v_cndmask_b32_e32 v6, v2, v26, vcc
; %bb.860:                              ;   in Loop: Header=BB12_732 Depth=2
	s_or_b64 exec, exec, s[46:47]
	v_and_b32_e32 v2, 0xffff0000, v29
	v_and_b32_e32 v26, 0xffff0000, v3
	v_pk_add_f32 v[2:3], v[2:3], v[26:27] op_sel_hi:[0,1]
	v_and_b32_e32 v3, 0x7f800000, v2
	v_cmp_ne_u32_e32 vcc, s65, v3
                                        ; implicit-def: $vgpr7
	s_and_saveexec_b64 s[46:47], vcc
	s_xor_b64 vcc, exec, s[46:47]
; %bb.861:                              ;   in Loop: Header=BB12_732 Depth=2
	v_bfe_u32 v3, v2, 16, 1
	v_add3_u32 v7, v2, v3, s66
                                        ; implicit-def: $vgpr2_vgpr3
; %bb.862:                              ;   in Loop: Header=BB12_732 Depth=2
	s_or_saveexec_b64 s[46:47], vcc
	v_mov_b32_e32 v27, v43
	v_mov_b32_e32 v26, v42
	s_xor_b64 exec, exec, s[46:47]
	s_cbranch_execz .LBB12_731
; %bb.863:                              ;   in Loop: Header=BB12_732 Depth=2
	v_or_b32_e32 v3, 0x10000, v2
	v_cmp_eq_u32_sdwa vcc, v2, v55 src0_sel:WORD_0 src1_sel:DWORD
	v_cndmask_b32_e32 v7, v3, v2, vcc
	s_branch .LBB12_731
.LBB12_864:                             ;   in Loop: Header=BB12_659 Depth=1
	s_or_b64 exec, exec, s[20:21]
	s_and_b64 s[20:21], s[22:23], exec
	v_mov_b32_e32 v29, v9
	v_accvgpr_read_b32 v34, a19
	v_accvgpr_read_b32 v37, a22
	;; [unrolled: 1-line block ×10, first 2 shown]
.LBB12_865:                             ;   in Loop: Header=BB12_659 Depth=1
	s_or_b64 exec, exec, s[18:19]
	s_and_saveexec_b64 s[18:19], s[20:21]
	s_cbranch_execz .LBB12_931
; %bb.866:                              ;   in Loop: Header=BB12_659 Depth=1
	v_lshlrev_b32_e32 v2, 16, v22
	v_lshlrev_b32_e32 v4, 16, v18
	v_pk_add_f32 v[2:3], v[2:3], v[4:5] op_sel_hi:[0,1]
	v_and_b32_e32 v3, 0x7f800000, v2
	v_cmp_ne_u32_e32 vcc, s65, v3
                                        ; implicit-def: $vgpr26
	s_and_saveexec_b64 s[20:21], vcc
	s_xor_b64 s[20:21], exec, s[20:21]
; %bb.867:                              ;   in Loop: Header=BB12_659 Depth=1
	v_bfe_u32 v3, v2, 16, 1
	v_add3_u32 v26, v2, v3, s66
                                        ; implicit-def: $vgpr2_vgpr3
; %bb.868:                              ;   in Loop: Header=BB12_659 Depth=1
	s_andn2_saveexec_b64 s[20:21], s[20:21]
; %bb.869:                              ;   in Loop: Header=BB12_659 Depth=1
	v_or_b32_e32 v3, 0x10000, v2
	v_cmp_eq_u32_sdwa vcc, v2, v55 src0_sel:WORD_0 src1_sel:DWORD
	v_cndmask_b32_e32 v26, v3, v2, vcc
; %bb.870:                              ;   in Loop: Header=BB12_659 Depth=1
	s_or_b64 exec, exec, s[20:21]
	v_mov_b32_e32 v2, v18
	v_mov_b32_e32 v3, v22
	v_and_b32_e32 v4, 0xffff0000, v3
	v_and_b32_e32 v2, 0xffff0000, v2
	v_pk_add_f32 v[2:3], v[4:5], v[2:3] op_sel_hi:[0,1]
	v_and_b32_e32 v3, 0x7f800000, v2
	v_cmp_ne_u32_e32 vcc, s65, v3
                                        ; implicit-def: $vgpr18
	s_and_saveexec_b64 s[20:21], vcc
	s_xor_b64 s[20:21], exec, s[20:21]
; %bb.871:                              ;   in Loop: Header=BB12_659 Depth=1
	v_bfe_u32 v3, v2, 16, 1
	v_add3_u32 v18, v2, v3, s66
                                        ; implicit-def: $vgpr2_vgpr3
; %bb.872:                              ;   in Loop: Header=BB12_659 Depth=1
	s_andn2_saveexec_b64 s[20:21], s[20:21]
; %bb.873:                              ;   in Loop: Header=BB12_659 Depth=1
	v_or_b32_e32 v3, 0x10000, v2
	v_cmp_eq_u32_sdwa vcc, v2, v55 src0_sel:WORD_0 src1_sel:DWORD
	v_cndmask_b32_e32 v18, v3, v2, vcc
; %bb.874:                              ;   in Loop: Header=BB12_659 Depth=1
	s_or_b64 exec, exec, s[20:21]
	v_lshlrev_b32_e32 v2, 16, v23
	v_lshlrev_b32_e32 v4, 16, v19
	v_pk_add_f32 v[2:3], v[2:3], v[4:5] op_sel_hi:[0,1]
	v_and_b32_e32 v3, 0x7f800000, v2
	v_cmp_ne_u32_e32 vcc, s65, v3
                                        ; implicit-def: $vgpr22
	s_and_saveexec_b64 s[20:21], vcc
	s_xor_b64 s[20:21], exec, s[20:21]
; %bb.875:                              ;   in Loop: Header=BB12_659 Depth=1
	v_bfe_u32 v3, v2, 16, 1
	v_add3_u32 v22, v2, v3, s66
                                        ; implicit-def: $vgpr2_vgpr3
; %bb.876:                              ;   in Loop: Header=BB12_659 Depth=1
	s_andn2_saveexec_b64 s[20:21], s[20:21]
; %bb.877:                              ;   in Loop: Header=BB12_659 Depth=1
	v_or_b32_e32 v3, 0x10000, v2
	v_cmp_eq_u32_sdwa vcc, v2, v55 src0_sel:WORD_0 src1_sel:DWORD
	v_cndmask_b32_e32 v22, v3, v2, vcc
; %bb.878:                              ;   in Loop: Header=BB12_659 Depth=1
	s_or_b64 exec, exec, s[20:21]
	v_mov_b32_e32 v2, v19
	v_and_b32_e32 v4, 0xffff0000, v23
	v_and_b32_e32 v2, 0xffff0000, v2
	v_pk_add_f32 v[2:3], v[4:5], v[2:3] op_sel_hi:[0,1]
	v_and_b32_e32 v3, 0x7f800000, v2
	v_cmp_ne_u32_e32 vcc, s65, v3
                                        ; implicit-def: $vgpr19
	s_and_saveexec_b64 s[20:21], vcc
	s_xor_b64 s[20:21], exec, s[20:21]
; %bb.879:                              ;   in Loop: Header=BB12_659 Depth=1
	v_bfe_u32 v3, v2, 16, 1
	v_add3_u32 v19, v2, v3, s66
                                        ; implicit-def: $vgpr2_vgpr3
; %bb.880:                              ;   in Loop: Header=BB12_659 Depth=1
	s_andn2_saveexec_b64 s[20:21], s[20:21]
; %bb.881:                              ;   in Loop: Header=BB12_659 Depth=1
	v_or_b32_e32 v3, 0x10000, v2
	v_cmp_eq_u32_sdwa vcc, v2, v55 src0_sel:WORD_0 src1_sel:DWORD
	v_cndmask_b32_e32 v19, v3, v2, vcc
; %bb.882:                              ;   in Loop: Header=BB12_659 Depth=1
	s_or_b64 exec, exec, s[20:21]
	v_lshlrev_b32_e32 v2, 16, v24
	v_lshlrev_b32_e32 v4, 16, v20
	v_pk_add_f32 v[2:3], v[2:3], v[4:5] op_sel_hi:[0,1]
	v_and_b32_e32 v3, 0x7f800000, v2
	v_cmp_ne_u32_e32 vcc, s65, v3
                                        ; implicit-def: $vgpr23
	s_and_saveexec_b64 s[20:21], vcc
	s_xor_b64 s[20:21], exec, s[20:21]
; %bb.883:                              ;   in Loop: Header=BB12_659 Depth=1
	v_bfe_u32 v3, v2, 16, 1
	v_add3_u32 v23, v2, v3, s66
                                        ; implicit-def: $vgpr2_vgpr3
; %bb.884:                              ;   in Loop: Header=BB12_659 Depth=1
	s_andn2_saveexec_b64 s[20:21], s[20:21]
; %bb.885:                              ;   in Loop: Header=BB12_659 Depth=1
	v_or_b32_e32 v3, 0x10000, v2
	v_cmp_eq_u32_sdwa vcc, v2, v55 src0_sel:WORD_0 src1_sel:DWORD
	v_cndmask_b32_e32 v23, v3, v2, vcc
; %bb.886:                              ;   in Loop: Header=BB12_659 Depth=1
	s_or_b64 exec, exec, s[20:21]
	v_mov_b32_e32 v2, v20
	v_mov_b32_e32 v3, v24
	v_and_b32_e32 v4, 0xffff0000, v3
	v_and_b32_e32 v2, 0xffff0000, v2
	v_pk_add_f32 v[2:3], v[4:5], v[2:3] op_sel_hi:[0,1]
	v_and_b32_e32 v3, 0x7f800000, v2
	v_cmp_ne_u32_e32 vcc, s65, v3
                                        ; implicit-def: $vgpr20
	s_and_saveexec_b64 s[20:21], vcc
	s_xor_b64 s[20:21], exec, s[20:21]
; %bb.887:                              ;   in Loop: Header=BB12_659 Depth=1
	v_bfe_u32 v3, v2, 16, 1
	v_add3_u32 v20, v2, v3, s66
                                        ; implicit-def: $vgpr2_vgpr3
; %bb.888:                              ;   in Loop: Header=BB12_659 Depth=1
	s_andn2_saveexec_b64 s[20:21], s[20:21]
; %bb.889:                              ;   in Loop: Header=BB12_659 Depth=1
	v_or_b32_e32 v3, 0x10000, v2
	v_cmp_eq_u32_sdwa vcc, v2, v55 src0_sel:WORD_0 src1_sel:DWORD
	v_cndmask_b32_e32 v20, v3, v2, vcc
; %bb.890:                              ;   in Loop: Header=BB12_659 Depth=1
	s_or_b64 exec, exec, s[20:21]
	v_lshlrev_b32_e32 v2, 16, v25
	v_lshlrev_b32_e32 v4, 16, v21
	v_pk_add_f32 v[2:3], v[2:3], v[4:5] op_sel_hi:[0,1]
	v_and_b32_e32 v3, 0x7f800000, v2
	v_cmp_ne_u32_e32 vcc, s65, v3
                                        ; implicit-def: $vgpr24
	s_and_saveexec_b64 s[20:21], vcc
	s_xor_b64 s[20:21], exec, s[20:21]
; %bb.891:                              ;   in Loop: Header=BB12_659 Depth=1
	v_bfe_u32 v3, v2, 16, 1
	v_add3_u32 v24, v2, v3, s66
                                        ; implicit-def: $vgpr2_vgpr3
; %bb.892:                              ;   in Loop: Header=BB12_659 Depth=1
	s_andn2_saveexec_b64 s[20:21], s[20:21]
; %bb.893:                              ;   in Loop: Header=BB12_659 Depth=1
	v_or_b32_e32 v3, 0x10000, v2
	v_cmp_eq_u32_sdwa vcc, v2, v55 src0_sel:WORD_0 src1_sel:DWORD
	v_cndmask_b32_e32 v24, v3, v2, vcc
; %bb.894:                              ;   in Loop: Header=BB12_659 Depth=1
	s_or_b64 exec, exec, s[20:21]
	v_mov_b32_e32 v2, v21
	v_and_b32_e32 v4, 0xffff0000, v25
	v_and_b32_e32 v2, 0xffff0000, v2
	v_pk_add_f32 v[2:3], v[4:5], v[2:3] op_sel_hi:[0,1]
	v_and_b32_e32 v3, 0x7f800000, v2
	v_cmp_ne_u32_e32 vcc, s65, v3
                                        ; implicit-def: $vgpr21
	s_and_saveexec_b64 s[20:21], vcc
	s_xor_b64 s[20:21], exec, s[20:21]
; %bb.895:                              ;   in Loop: Header=BB12_659 Depth=1
	v_bfe_u32 v3, v2, 16, 1
	v_add3_u32 v21, v2, v3, s66
                                        ; implicit-def: $vgpr2_vgpr3
; %bb.896:                              ;   in Loop: Header=BB12_659 Depth=1
	s_andn2_saveexec_b64 s[20:21], s[20:21]
; %bb.897:                              ;   in Loop: Header=BB12_659 Depth=1
	v_or_b32_e32 v3, 0x10000, v2
	v_cmp_eq_u32_sdwa vcc, v2, v55 src0_sel:WORD_0 src1_sel:DWORD
	v_cndmask_b32_e32 v21, v3, v2, vcc
; %bb.898:                              ;   in Loop: Header=BB12_659 Depth=1
	s_or_b64 exec, exec, s[20:21]
	v_lshlrev_b32_e32 v2, 16, v14
	v_lshlrev_b32_e32 v4, 16, v10
	v_pk_add_f32 v[2:3], v[2:3], v[4:5] op_sel_hi:[0,1]
	v_and_b32_e32 v3, 0x7f800000, v2
	v_cmp_ne_u32_e32 vcc, s65, v3
                                        ; implicit-def: $vgpr25
	s_and_saveexec_b64 s[20:21], vcc
	s_xor_b64 s[20:21], exec, s[20:21]
; %bb.899:                              ;   in Loop: Header=BB12_659 Depth=1
	v_bfe_u32 v3, v2, 16, 1
	v_add3_u32 v25, v2, v3, s66
                                        ; implicit-def: $vgpr2_vgpr3
; %bb.900:                              ;   in Loop: Header=BB12_659 Depth=1
	s_andn2_saveexec_b64 s[20:21], s[20:21]
; %bb.901:                              ;   in Loop: Header=BB12_659 Depth=1
	v_or_b32_e32 v3, 0x10000, v2
	v_cmp_eq_u32_sdwa vcc, v2, v55 src0_sel:WORD_0 src1_sel:DWORD
	v_cndmask_b32_e32 v25, v3, v2, vcc
; %bb.902:                              ;   in Loop: Header=BB12_659 Depth=1
	s_or_b64 exec, exec, s[20:21]
	v_mov_b32_e32 v2, v10
	v_mov_b32_e32 v3, v14
	v_and_b32_e32 v4, 0xffff0000, v3
	v_and_b32_e32 v2, 0xffff0000, v2
	v_pk_add_f32 v[2:3], v[4:5], v[2:3] op_sel_hi:[0,1]
	v_and_b32_e32 v3, 0x7f800000, v2
	v_cmp_ne_u32_e32 vcc, s65, v3
                                        ; implicit-def: $vgpr4
	s_and_saveexec_b64 s[20:21], vcc
	s_xor_b64 s[20:21], exec, s[20:21]
; %bb.903:                              ;   in Loop: Header=BB12_659 Depth=1
	v_bfe_u32 v3, v2, 16, 1
	v_add3_u32 v4, v2, v3, s66
                                        ; implicit-def: $vgpr2_vgpr3
; %bb.904:                              ;   in Loop: Header=BB12_659 Depth=1
	s_andn2_saveexec_b64 s[20:21], s[20:21]
; %bb.905:                              ;   in Loop: Header=BB12_659 Depth=1
	v_or_b32_e32 v3, 0x10000, v2
	v_cmp_eq_u32_sdwa vcc, v2, v55 src0_sel:WORD_0 src1_sel:DWORD
	v_cndmask_b32_e32 v4, v3, v2, vcc
; %bb.906:                              ;   in Loop: Header=BB12_659 Depth=1
	s_or_b64 exec, exec, s[20:21]
	v_lshlrev_b32_e32 v2, 16, v15
	v_lshlrev_b32_e32 v6, 16, v11
	v_pk_add_f32 v[2:3], v[2:3], v[6:7] op_sel_hi:[0,1]
	v_and_b32_e32 v3, 0x7f800000, v2
	v_cmp_ne_u32_e32 vcc, s65, v3
                                        ; implicit-def: $vgpr5
	s_and_saveexec_b64 s[20:21], vcc
	s_xor_b64 s[20:21], exec, s[20:21]
; %bb.907:                              ;   in Loop: Header=BB12_659 Depth=1
	v_bfe_u32 v3, v2, 16, 1
	v_add3_u32 v5, v2, v3, s66
                                        ; implicit-def: $vgpr2_vgpr3
; %bb.908:                              ;   in Loop: Header=BB12_659 Depth=1
	s_andn2_saveexec_b64 s[20:21], s[20:21]
; %bb.909:                              ;   in Loop: Header=BB12_659 Depth=1
	v_or_b32_e32 v3, 0x10000, v2
	v_cmp_eq_u32_sdwa vcc, v2, v55 src0_sel:WORD_0 src1_sel:DWORD
	v_cndmask_b32_e32 v5, v3, v2, vcc
; %bb.910:                              ;   in Loop: Header=BB12_659 Depth=1
	s_or_b64 exec, exec, s[20:21]
	v_mov_b32_e32 v2, v11
	v_and_b32_e32 v6, 0xffff0000, v15
	v_and_b32_e32 v2, 0xffff0000, v2
	v_pk_add_f32 v[2:3], v[6:7], v[2:3] op_sel_hi:[0,1]
	v_and_b32_e32 v3, 0x7f800000, v2
	v_cmp_ne_u32_e32 vcc, s65, v3
                                        ; implicit-def: $vgpr10
	s_and_saveexec_b64 s[20:21], vcc
	s_xor_b64 s[20:21], exec, s[20:21]
; %bb.911:                              ;   in Loop: Header=BB12_659 Depth=1
	v_bfe_u32 v3, v2, 16, 1
	v_add3_u32 v10, v2, v3, s66
                                        ; implicit-def: $vgpr2_vgpr3
; %bb.912:                              ;   in Loop: Header=BB12_659 Depth=1
	s_andn2_saveexec_b64 s[20:21], s[20:21]
; %bb.913:                              ;   in Loop: Header=BB12_659 Depth=1
	v_or_b32_e32 v3, 0x10000, v2
	v_cmp_eq_u32_sdwa vcc, v2, v55 src0_sel:WORD_0 src1_sel:DWORD
	v_cndmask_b32_e32 v10, v3, v2, vcc
; %bb.914:                              ;   in Loop: Header=BB12_659 Depth=1
	s_or_b64 exec, exec, s[20:21]
	v_lshlrev_b32_e32 v2, 16, v16
	v_lshlrev_b32_e32 v6, 16, v12
	v_pk_add_f32 v[2:3], v[2:3], v[6:7] op_sel_hi:[0,1]
	v_and_b32_e32 v3, 0x7f800000, v2
	v_cmp_ne_u32_e32 vcc, s65, v3
                                        ; implicit-def: $vgpr11
	s_and_saveexec_b64 s[20:21], vcc
	s_xor_b64 s[20:21], exec, s[20:21]
; %bb.915:                              ;   in Loop: Header=BB12_659 Depth=1
	v_bfe_u32 v3, v2, 16, 1
	v_add3_u32 v11, v2, v3, s66
                                        ; implicit-def: $vgpr2_vgpr3
; %bb.916:                              ;   in Loop: Header=BB12_659 Depth=1
	s_andn2_saveexec_b64 s[20:21], s[20:21]
; %bb.917:                              ;   in Loop: Header=BB12_659 Depth=1
	v_or_b32_e32 v3, 0x10000, v2
	v_cmp_eq_u32_sdwa vcc, v2, v55 src0_sel:WORD_0 src1_sel:DWORD
	v_cndmask_b32_e32 v11, v3, v2, vcc
; %bb.918:                              ;   in Loop: Header=BB12_659 Depth=1
	s_or_b64 exec, exec, s[20:21]
	v_mov_b32_e32 v2, v12
	v_mov_b32_e32 v3, v16
	v_and_b32_e32 v6, 0xffff0000, v3
	v_and_b32_e32 v2, 0xffff0000, v2
	v_pk_add_f32 v[2:3], v[6:7], v[2:3] op_sel_hi:[0,1]
	v_and_b32_e32 v3, 0x7f800000, v2
	v_cmp_ne_u32_e32 vcc, s65, v3
                                        ; implicit-def: $vgpr12
	s_and_saveexec_b64 s[20:21], vcc
	s_xor_b64 s[20:21], exec, s[20:21]
; %bb.919:                              ;   in Loop: Header=BB12_659 Depth=1
	v_bfe_u32 v3, v2, 16, 1
	v_add3_u32 v12, v2, v3, s66
                                        ; implicit-def: $vgpr2_vgpr3
; %bb.920:                              ;   in Loop: Header=BB12_659 Depth=1
	s_andn2_saveexec_b64 s[20:21], s[20:21]
; %bb.921:                              ;   in Loop: Header=BB12_659 Depth=1
	v_or_b32_e32 v3, 0x10000, v2
	v_cmp_eq_u32_sdwa vcc, v2, v55 src0_sel:WORD_0 src1_sel:DWORD
	v_cndmask_b32_e32 v12, v3, v2, vcc
; %bb.922:                              ;   in Loop: Header=BB12_659 Depth=1
	s_or_b64 exec, exec, s[20:21]
	v_lshlrev_b32_e32 v2, 16, v17
	v_lshlrev_b32_e32 v6, 16, v13
	v_pk_add_f32 v[2:3], v[2:3], v[6:7] op_sel_hi:[0,1]
	v_and_b32_e32 v3, 0x7f800000, v2
	v_cmp_ne_u32_e32 vcc, s65, v3
                                        ; implicit-def: $vgpr6
	s_and_saveexec_b64 s[20:21], vcc
	s_xor_b64 s[20:21], exec, s[20:21]
; %bb.923:                              ;   in Loop: Header=BB12_659 Depth=1
	v_bfe_u32 v3, v2, 16, 1
	v_add3_u32 v6, v2, v3, s66
                                        ; implicit-def: $vgpr2_vgpr3
; %bb.924:                              ;   in Loop: Header=BB12_659 Depth=1
	s_andn2_saveexec_b64 s[20:21], s[20:21]
; %bb.925:                              ;   in Loop: Header=BB12_659 Depth=1
	v_or_b32_e32 v3, 0x10000, v2
	v_cmp_eq_u32_sdwa vcc, v2, v55 src0_sel:WORD_0 src1_sel:DWORD
	v_cndmask_b32_e32 v6, v3, v2, vcc
; %bb.926:                              ;   in Loop: Header=BB12_659 Depth=1
	s_or_b64 exec, exec, s[20:21]
	v_mov_b32_e32 v2, v13
	v_and_b32_e32 v8, 0xffff0000, v17
	v_and_b32_e32 v2, 0xffff0000, v2
	v_pk_add_f32 v[2:3], v[8:9], v[2:3] op_sel_hi:[0,1]
	v_and_b32_e32 v3, 0x7f800000, v2
	v_cmp_ne_u32_e32 vcc, s65, v3
                                        ; implicit-def: $vgpr7
	s_and_saveexec_b64 s[20:21], vcc
	s_xor_b64 s[20:21], exec, s[20:21]
; %bb.927:                              ;   in Loop: Header=BB12_659 Depth=1
	v_bfe_u32 v3, v2, 16, 1
	v_add3_u32 v7, v2, v3, s66
                                        ; implicit-def: $vgpr2_vgpr3
; %bb.928:                              ;   in Loop: Header=BB12_659 Depth=1
	s_andn2_saveexec_b64 s[20:21], s[20:21]
; %bb.929:                              ;   in Loop: Header=BB12_659 Depth=1
	v_or_b32_e32 v3, 0x10000, v2
	v_cmp_eq_u32_sdwa vcc, v2, v55 src0_sel:WORD_0 src1_sel:DWORD
	v_cndmask_b32_e32 v7, v3, v2, vcc
; %bb.930:                              ;   in Loop: Header=BB12_659 Depth=1
	s_or_b64 exec, exec, s[20:21]
	v_lshrrev_b32_e32 v2, 16, v22
	v_and_or_b32 v15, v19, s67, v2
	v_lshrrev_b32_e32 v2, 16, v26
	v_and_or_b32 v14, v18, s67, v2
	;; [unrolled: 2-line block ×6, first 2 shown]
	v_lshrrev_b32_e32 v4, 16, v11
	v_lshrrev_b32_e32 v5, 16, v6
	v_and_or_b32 v4, v12, s67, v4
	v_and_or_b32 v5, v7, s67, v5
	global_store_dwordx4 v[0:1], v[14:17], off glc slc
	global_store_dwordx4 v[0:1], v[2:5], off offset:1024 glc slc
.LBB12_931:                             ;   in Loop: Header=BB12_659 Depth=1
	s_or_b64 exec, exec, s[18:19]
	v_accvgpr_read_b32 v0, a45
	v_lshlrev_b32_e32 v16, 11, v0
	v_cmp_ne_u32_e32 vcc, v32, v16
	s_mov_b64 s[18:19], 0
	v_mov_b32_e32 v14, 0
                                        ; implicit-def: $vgpr15
                                        ; implicit-def: $vgpr0
	s_and_saveexec_b64 s[44:45], vcc
	s_cbranch_execz .LBB12_1046
; %bb.932:                              ;   in Loop: Header=BB12_659 Depth=1
	v_lshlrev_b32_e32 v1, 6, v45
	v_sub_u32_e32 v1, v37, v1
	v_ashrrev_i32_e32 v2, 31, v1
	v_lshrrev_b32_e32 v2, 26, v2
	v_add_u32_e32 v2, v1, v2
	v_ashrrev_i32_e32 v3, 6, v2
	v_and_b32_e32 v2, 0xffffffc0, v2
	v_sub_u32_e32 v17, v1, v2
	v_lshlrev_b32_e32 v1, 4, v17
	v_sub_u32_e32 v0, v32, v16
	v_lshl_add_u32 v1, v3, 10, v1
	v_add_u32_e32 v10, v1, v16
	v_sub_u32_e32 v14, v0, v1
	v_ashrrev_i32_e32 v1, 31, v0
	v_lshrrev_b32_e32 v1, 22, v1
	v_add_u32_e32 v1, v0, v1
	v_and_b32_e32 v18, 0xfffffc00, v1
	v_sub_u32_e32 v19, v0, v18
	v_ashrrev_i32_e32 v2, 10, v1
	v_cmp_lt_i32_e64 s[18:19], 15, v19
	v_addc_co_u32_e64 v0, vcc, 0, v2, s[18:19]
	v_sub_u32_e32 v20, v0, v3
	v_accvgpr_read_b32 v0, a46
	v_ashrrev_i32_e32 v11, 31, v10
	v_accvgpr_read_b32 v1, a47
	v_add_co_u32_e32 v0, vcc, v10, v0
	v_addc_co_u32_e32 v1, vcc, v11, v1, vcc
	v_cmp_lt_i32_e32 vcc, 15, v14
	s_mov_b64 s[22:23], 0
	s_and_saveexec_b64 s[46:47], vcc
	s_cbranch_execz .LBB12_1009
; %bb.933:                              ;   in Loop: Header=BB12_659 Depth=1
	s_trap 2
	ds_read_b128 v[2:5], v0
	s_mov_b64 s[52:53], 0
	s_mov_b64 s[48:49], 0
                                        ; implicit-def: $sgpr50_sgpr51
	s_waitcnt lgkmcnt(0)
	v_add_co_u32_e32 v2, vcc, v2, v10
	v_addc_co_u32_e32 v3, vcc, v3, v11, vcc
	v_add_co_u32_e32 v10, vcc, v4, v10
	v_addc_co_u32_e32 v11, vcc, v5, v11, vcc
	s_branch .LBB12_935
.LBB12_934:                             ;   in Loop: Header=BB12_935 Depth=2
	s_or_b64 exec, exec, s[20:21]
	v_cmp_gt_i32_e32 vcc, 16, v14
	s_or_b64 s[48:49], vcc, s[48:49]
	s_andn2_b64 s[20:21], s[50:51], exec
	s_and_b64 s[22:23], s[52:53], exec
	s_or_b64 s[50:51], s[20:21], s[22:23]
	s_andn2_b64 exec, exec, s[48:49]
	s_cbranch_execz .LBB12_1008
.LBB12_935:                             ;   Parent Loop BB12_659 Depth=1
                                        ; =>  This Loop Header: Depth=2
                                        ;       Child Loop BB12_936 Depth 3
                                        ;       Child Loop BB12_973 Depth 3
	v_lshrrev_b32_e64 v4, 6, s33
	v_add_u32_e32 v4, 0x90, v4
	s_mov_b64 s[54:55], -1
	s_mov_b64 s[56:57], 0
.LBB12_936:                             ;   Parent Loop BB12_659 Depth=1
                                        ;     Parent Loop BB12_935 Depth=2
                                        ; =>    This Inner Loop Header: Depth=3
	s_cmp_eq_u32 s56, 1
	s_cselect_b64 s[20:21], -1, 0
	v_cndmask_b32_e64 v13, v3, v11, s[20:21]
	v_cndmask_b32_e64 v12, v2, v10, s[20:21]
	global_load_dwordx4 v[6:9], v[12:13], off glc slc
	v_add_co_u32_e32 v5, vcc, s62, v12
	s_cmp_eq_u32 s56, 0
	v_addc_co_u32_e32 v12, vcc, 0, v13, vcc
	s_cselect_b64 vcc, -1, 0
	s_and_b64 s[22:23], exec, s[54:55]
	s_mov_b64 s[56:57], 1
	v_cndmask_b32_e64 v10, v10, v5, s[20:21]
	s_mov_b64 s[54:55], 0
	v_cndmask_b32_e32 v3, v3, v12, vcc
	v_cndmask_b32_e32 v2, v2, v5, vcc
	v_cndmask_b32_e64 v11, v11, v12, s[20:21]
	s_mov_b64 vcc, s[22:23]
	s_waitcnt vmcnt(0)
	buffer_store_dword v7, v4, s[0:3], 0 offen offset:4
	buffer_store_dword v6, v4, s[0:3], 0 offen
	buffer_store_dword v9, v4, s[0:3], 0 offen offset:12
	buffer_store_dword v8, v4, s[0:3], 0 offen offset:8
	v_mov_b32_e32 v4, v61
	s_cbranch_vccnz .LBB12_936
; %bb.937:                              ;   in Loop: Header=BB12_935 Depth=2
	s_and_saveexec_b64 s[20:21], s[52:53]
	s_cbranch_execz .LBB12_971
; %bb.938:                              ;   in Loop: Header=BB12_935 Depth=2
	buffer_load_dword v6, off, s[0:3], s33 offset:192
	buffer_load_dword v5, off, s[0:3], s33 offset:176
	;; [unrolled: 1-line block ×8, first 2 shown]
                                        ; implicit-def: $vgpr15
	s_waitcnt vmcnt(7)
	v_lshlrev_b32_e32 v8, 16, v6
	s_waitcnt vmcnt(6)
	v_lshlrev_b32_e32 v12, 16, v5
	v_pk_add_f32 v[12:13], v[8:9], v[12:13] op_sel_hi:[0,1]
	v_and_b32_e32 v7, 0x7f800000, v12
	v_cmp_ne_u32_e32 vcc, s65, v7
	s_and_saveexec_b64 s[22:23], vcc
	s_xor_b64 s[22:23], exec, s[22:23]
; %bb.939:                              ;   in Loop: Header=BB12_935 Depth=2
	v_bfe_u32 v7, v12, 16, 1
	v_add3_u32 v15, v12, v7, s66
                                        ; implicit-def: $vgpr12_vgpr13
; %bb.940:                              ;   in Loop: Header=BB12_935 Depth=2
	s_andn2_saveexec_b64 s[22:23], s[22:23]
; %bb.941:                              ;   in Loop: Header=BB12_935 Depth=2
	v_or_b32_e32 v7, 0x10000, v12
	v_cmp_eq_u32_sdwa vcc, v12, v55 src0_sel:WORD_0 src1_sel:DWORD
	v_cndmask_b32_e32 v15, v7, v12, vcc
; %bb.942:                              ;   in Loop: Header=BB12_935 Depth=2
	s_or_b64 exec, exec, s[22:23]
	v_and_b32_e32 v6, 0xffff0000, v6
	v_and_b32_e32 v8, 0xffff0000, v5
	v_pk_add_f32 v[12:13], v[6:7], v[8:9] op_sel_hi:[0,1]
	v_and_b32_e32 v5, 0x7f800000, v12
	v_cmp_ne_u32_e32 vcc, s65, v5
                                        ; implicit-def: $vgpr22
	s_and_saveexec_b64 s[22:23], vcc
	s_xor_b64 s[22:23], exec, s[22:23]
; %bb.943:                              ;   in Loop: Header=BB12_935 Depth=2
	v_bfe_u32 v5, v12, 16, 1
	v_add3_u32 v22, v12, v5, s66
                                        ; implicit-def: $vgpr12_vgpr13
; %bb.944:                              ;   in Loop: Header=BB12_935 Depth=2
	s_andn2_saveexec_b64 s[22:23], s[22:23]
; %bb.945:                              ;   in Loop: Header=BB12_935 Depth=2
	v_or_b32_e32 v5, 0x10000, v12
	v_cmp_eq_u32_sdwa vcc, v12, v55 src0_sel:WORD_0 src1_sel:DWORD
	v_cndmask_b32_e32 v22, v5, v12, vcc
; %bb.946:                              ;   in Loop: Header=BB12_935 Depth=2
	s_or_b64 exec, exec, s[22:23]
	s_waitcnt vmcnt(2)
	v_lshlrev_b32_e32 v6, 16, v26
	v_lshlrev_b32_e32 v8, 16, v25
	v_pk_add_f32 v[12:13], v[6:7], v[8:9] op_sel_hi:[0,1]
	v_and_b32_e32 v5, 0x7f800000, v12
	v_cmp_ne_u32_e32 vcc, s65, v5
                                        ; implicit-def: $vgpr5
	s_and_saveexec_b64 s[22:23], vcc
	s_xor_b64 s[22:23], exec, s[22:23]
; %bb.947:                              ;   in Loop: Header=BB12_935 Depth=2
	v_bfe_u32 v5, v12, 16, 1
	v_add3_u32 v5, v12, v5, s66
                                        ; implicit-def: $vgpr12_vgpr13
; %bb.948:                              ;   in Loop: Header=BB12_935 Depth=2
	s_andn2_saveexec_b64 s[22:23], s[22:23]
; %bb.949:                              ;   in Loop: Header=BB12_935 Depth=2
	v_or_b32_e32 v5, 0x10000, v12
	v_cmp_eq_u32_sdwa vcc, v12, v55 src0_sel:WORD_0 src1_sel:DWORD
	v_cndmask_b32_e32 v5, v5, v12, vcc
; %bb.950:                              ;   in Loop: Header=BB12_935 Depth=2
	s_or_b64 exec, exec, s[22:23]
	v_and_b32_e32 v6, 0xffff0000, v26
	v_and_b32_e32 v8, 0xffff0000, v25
	v_pk_add_f32 v[12:13], v[6:7], v[8:9] op_sel_hi:[0,1]
	v_and_b32_e32 v6, 0x7f800000, v12
	v_cmp_ne_u32_e32 vcc, s65, v6
                                        ; implicit-def: $vgpr25
	s_and_saveexec_b64 s[22:23], vcc
	s_xor_b64 s[22:23], exec, s[22:23]
; %bb.951:                              ;   in Loop: Header=BB12_935 Depth=2
	v_bfe_u32 v6, v12, 16, 1
	v_add3_u32 v25, v12, v6, s66
                                        ; implicit-def: $vgpr12_vgpr13
; %bb.952:                              ;   in Loop: Header=BB12_935 Depth=2
	s_andn2_saveexec_b64 s[22:23], s[22:23]
; %bb.953:                              ;   in Loop: Header=BB12_935 Depth=2
	v_or_b32_e32 v6, 0x10000, v12
	v_cmp_eq_u32_sdwa vcc, v12, v55 src0_sel:WORD_0 src1_sel:DWORD
	v_cndmask_b32_e32 v25, v6, v12, vcc
; %bb.954:                              ;   in Loop: Header=BB12_935 Depth=2
	s_or_b64 exec, exec, s[22:23]
	s_waitcnt vmcnt(1)
	v_lshlrev_b32_e32 v6, 16, v24
	v_lshlrev_b32_e32 v8, 16, v23
	v_pk_add_f32 v[12:13], v[6:7], v[8:9] op_sel_hi:[0,1]
	v_and_b32_e32 v6, 0x7f800000, v12
	v_cmp_ne_u32_e32 vcc, s65, v6
                                        ; implicit-def: $vgpr26
	s_and_saveexec_b64 s[22:23], vcc
	s_xor_b64 s[22:23], exec, s[22:23]
; %bb.955:                              ;   in Loop: Header=BB12_935 Depth=2
	v_bfe_u32 v6, v12, 16, 1
	v_add3_u32 v26, v12, v6, s66
                                        ; implicit-def: $vgpr12_vgpr13
; %bb.956:                              ;   in Loop: Header=BB12_935 Depth=2
	s_andn2_saveexec_b64 s[22:23], s[22:23]
; %bb.957:                              ;   in Loop: Header=BB12_935 Depth=2
	v_or_b32_e32 v6, 0x10000, v12
	v_cmp_eq_u32_sdwa vcc, v12, v55 src0_sel:WORD_0 src1_sel:DWORD
	v_cndmask_b32_e32 v26, v6, v12, vcc
; %bb.958:                              ;   in Loop: Header=BB12_935 Depth=2
	s_or_b64 exec, exec, s[22:23]
	v_and_b32_e32 v6, 0xffff0000, v24
	v_and_b32_e32 v8, 0xffff0000, v23
	v_pk_add_f32 v[12:13], v[6:7], v[8:9] op_sel_hi:[0,1]
	v_and_b32_e32 v6, 0x7f800000, v12
	v_cmp_ne_u32_e32 vcc, s65, v6
                                        ; implicit-def: $vgpr23
	s_and_saveexec_b64 s[22:23], vcc
	s_xor_b64 s[22:23], exec, s[22:23]
; %bb.959:                              ;   in Loop: Header=BB12_935 Depth=2
	v_bfe_u32 v6, v12, 16, 1
	v_add3_u32 v23, v12, v6, s66
                                        ; implicit-def: $vgpr12_vgpr13
; %bb.960:                              ;   in Loop: Header=BB12_935 Depth=2
	s_andn2_saveexec_b64 s[22:23], s[22:23]
; %bb.961:                              ;   in Loop: Header=BB12_935 Depth=2
	v_or_b32_e32 v6, 0x10000, v12
	v_cmp_eq_u32_sdwa vcc, v12, v55 src0_sel:WORD_0 src1_sel:DWORD
	v_cndmask_b32_e32 v23, v6, v12, vcc
; %bb.962:                              ;   in Loop: Header=BB12_935 Depth=2
	s_or_b64 exec, exec, s[22:23]
	s_waitcnt vmcnt(0)
	v_lshlrev_b32_e32 v6, 16, v21
	v_lshlrev_b32_e32 v8, 16, v4
	v_pk_add_f32 v[12:13], v[6:7], v[8:9] op_sel_hi:[0,1]
	v_and_b32_e32 v6, 0x7f800000, v12
	v_cmp_ne_u32_e32 vcc, s65, v6
                                        ; implicit-def: $vgpr6
	s_and_saveexec_b64 s[22:23], vcc
	s_xor_b64 s[22:23], exec, s[22:23]
; %bb.963:                              ;   in Loop: Header=BB12_935 Depth=2
	v_bfe_u32 v6, v12, 16, 1
	v_add3_u32 v6, v12, v6, s66
                                        ; implicit-def: $vgpr12_vgpr13
; %bb.964:                              ;   in Loop: Header=BB12_935 Depth=2
	s_andn2_saveexec_b64 s[22:23], s[22:23]
; %bb.965:                              ;   in Loop: Header=BB12_935 Depth=2
	v_or_b32_e32 v6, 0x10000, v12
	v_cmp_eq_u32_sdwa vcc, v12, v55 src0_sel:WORD_0 src1_sel:DWORD
	v_cndmask_b32_e32 v6, v6, v12, vcc
; %bb.966:                              ;   in Loop: Header=BB12_935 Depth=2
	s_or_b64 exec, exec, s[22:23]
	v_and_b32_e32 v8, 0xffff0000, v21
	v_and_b32_e32 v4, 0xffff0000, v4
	v_pk_add_f32 v[12:13], v[8:9], v[4:5] op_sel_hi:[0,1]
	v_and_b32_e32 v4, 0x7f800000, v12
	v_cmp_ne_u32_e32 vcc, s65, v4
                                        ; implicit-def: $vgpr4
	s_and_saveexec_b64 s[22:23], vcc
	s_xor_b64 s[22:23], exec, s[22:23]
; %bb.967:                              ;   in Loop: Header=BB12_935 Depth=2
	v_bfe_u32 v4, v12, 16, 1
	v_add3_u32 v4, v12, v4, s66
                                        ; implicit-def: $vgpr12_vgpr13
; %bb.968:                              ;   in Loop: Header=BB12_935 Depth=2
	s_andn2_saveexec_b64 s[22:23], s[22:23]
; %bb.969:                              ;   in Loop: Header=BB12_935 Depth=2
	v_or_b32_e32 v4, 0x10000, v12
	v_cmp_eq_u32_sdwa vcc, v12, v55 src0_sel:WORD_0 src1_sel:DWORD
	v_cndmask_b32_e32 v4, v4, v12, vcc
; %bb.970:                              ;   in Loop: Header=BB12_935 Depth=2
	s_or_b64 exec, exec, s[22:23]
	v_lshrrev_b32_e32 v5, 16, v5
	v_and_or_b32 v25, v25, s67, v5
	v_lshrrev_b32_e32 v5, 16, v15
	v_and_or_b32 v24, v22, s67, v5
	;; [unrolled: 2-line block ×4, first 2 shown]
	v_accvgpr_read_b32 v4, a32
	buffer_store_dword v25, off, s[0:3], s33 offset:180
	buffer_store_dword v24, off, s[0:3], s33 offset:176
	;; [unrolled: 1-line block ×4, first 2 shown]
	global_store_dwordx4 v[0:1], v[24:27], off glc slc
	v_add_co_u32_e32 v0, vcc, v4, v0
	v_accvgpr_read_b32 v4, a33
	v_addc_co_u32_e32 v1, vcc, v4, v1, vcc
.LBB12_971:                             ;   in Loop: Header=BB12_935 Depth=2
	s_or_b64 exec, exec, s[20:21]
	v_accvgpr_read_b32 v4, a30
	v_add_co_u32_e32 v2, vcc, v2, v4
	v_accvgpr_read_b32 v5, a31
	v_addc_co_u32_e32 v3, vcc, v3, v5, vcc
	v_add_co_u32_e32 v10, vcc, v10, v4
	v_sub_u32_e32 v14, v14, v40
	v_addc_co_u32_e32 v11, vcc, v11, v5, vcc
	v_cmp_lt_i32_e64 s[52:53], 15, v14
	s_and_saveexec_b64 s[54:55], s[52:53]
	s_cbranch_execz .LBB12_974
; %bb.972:                              ;   in Loop: Header=BB12_935 Depth=2
	v_lshrrev_b32_e64 v4, 6, s33
	v_add_u32_e32 v4, 0xb0, v4
	s_mov_b64 s[58:59], 0
	s_mov_b64 s[56:57], -1
.LBB12_973:                             ;   Parent Loop BB12_659 Depth=1
                                        ;     Parent Loop BB12_935 Depth=2
                                        ; =>    This Inner Loop Header: Depth=3
	s_cmp_eq_u32 s58, 1
	s_cselect_b64 s[20:21], -1, 0
	v_cndmask_b32_e64 v13, v3, v11, s[20:21]
	v_cndmask_b32_e64 v12, v2, v10, s[20:21]
	global_load_dwordx4 v[6:9], v[12:13], off glc slc
	v_add_co_u32_e32 v5, vcc, s62, v12
	s_cmp_eq_u32 s58, 0
	v_addc_co_u32_e32 v12, vcc, 0, v13, vcc
	s_cselect_b64 vcc, -1, 0
	s_and_b64 s[22:23], exec, s[56:57]
	s_mov_b64 s[58:59], 1
	v_cndmask_b32_e64 v10, v10, v5, s[20:21]
	s_mov_b64 s[56:57], 0
	v_cndmask_b32_e32 v3, v3, v12, vcc
	v_cndmask_b32_e32 v2, v2, v5, vcc
	v_cndmask_b32_e64 v11, v11, v12, s[20:21]
	s_mov_b64 vcc, s[22:23]
	s_waitcnt vmcnt(0)
	buffer_store_dword v7, v4, s[0:3], 0 offen offset:4
	buffer_store_dword v6, v4, s[0:3], 0 offen
	buffer_store_dword v9, v4, s[0:3], 0 offen offset:12
	buffer_store_dword v8, v4, s[0:3], 0 offen offset:8
	v_mov_b32_e32 v4, v39
	s_cbranch_vccnz .LBB12_973
.LBB12_974:                             ;   in Loop: Header=BB12_935 Depth=2
	s_or_b64 exec, exec, s[54:55]
	buffer_load_dword v6, off, s[0:3], s33 offset:160
	buffer_load_dword v5, off, s[0:3], s33 offset:144
	;; [unrolled: 1-line block ×8, first 2 shown]
                                        ; implicit-def: $vgpr15
	s_waitcnt vmcnt(7)
	v_lshlrev_b32_e32 v8, 16, v6
	s_waitcnt vmcnt(6)
	v_lshlrev_b32_e32 v12, 16, v5
	v_pk_add_f32 v[12:13], v[8:9], v[12:13] op_sel_hi:[0,1]
	v_and_b32_e32 v7, 0x7f800000, v12
	v_cmp_ne_u32_e32 vcc, s65, v7
	s_and_saveexec_b64 s[20:21], vcc
	s_xor_b64 s[20:21], exec, s[20:21]
; %bb.975:                              ;   in Loop: Header=BB12_935 Depth=2
	v_bfe_u32 v7, v12, 16, 1
	v_add3_u32 v15, v12, v7, s66
                                        ; implicit-def: $vgpr12_vgpr13
; %bb.976:                              ;   in Loop: Header=BB12_935 Depth=2
	s_andn2_saveexec_b64 s[20:21], s[20:21]
; %bb.977:                              ;   in Loop: Header=BB12_935 Depth=2
	v_or_b32_e32 v7, 0x10000, v12
	v_cmp_eq_u32_sdwa vcc, v12, v55 src0_sel:WORD_0 src1_sel:DWORD
	v_cndmask_b32_e32 v15, v7, v12, vcc
; %bb.978:                              ;   in Loop: Header=BB12_935 Depth=2
	s_or_b64 exec, exec, s[20:21]
	v_and_b32_e32 v6, 0xffff0000, v6
	v_and_b32_e32 v8, 0xffff0000, v5
	v_pk_add_f32 v[12:13], v[6:7], v[8:9] op_sel_hi:[0,1]
	v_and_b32_e32 v5, 0x7f800000, v12
	v_cmp_ne_u32_e32 vcc, s65, v5
                                        ; implicit-def: $vgpr22
	s_and_saveexec_b64 s[20:21], vcc
	s_xor_b64 s[20:21], exec, s[20:21]
; %bb.979:                              ;   in Loop: Header=BB12_935 Depth=2
	v_bfe_u32 v5, v12, 16, 1
	v_add3_u32 v22, v12, v5, s66
                                        ; implicit-def: $vgpr12_vgpr13
; %bb.980:                              ;   in Loop: Header=BB12_935 Depth=2
	s_andn2_saveexec_b64 s[20:21], s[20:21]
; %bb.981:                              ;   in Loop: Header=BB12_935 Depth=2
	v_or_b32_e32 v5, 0x10000, v12
	v_cmp_eq_u32_sdwa vcc, v12, v55 src0_sel:WORD_0 src1_sel:DWORD
	v_cndmask_b32_e32 v22, v5, v12, vcc
; %bb.982:                              ;   in Loop: Header=BB12_935 Depth=2
	s_or_b64 exec, exec, s[20:21]
	s_waitcnt vmcnt(2)
	v_lshlrev_b32_e32 v6, 16, v26
	v_lshlrev_b32_e32 v8, 16, v25
	v_pk_add_f32 v[12:13], v[6:7], v[8:9] op_sel_hi:[0,1]
	v_and_b32_e32 v5, 0x7f800000, v12
	v_cmp_ne_u32_e32 vcc, s65, v5
                                        ; implicit-def: $vgpr5
	s_and_saveexec_b64 s[20:21], vcc
	s_xor_b64 s[20:21], exec, s[20:21]
; %bb.983:                              ;   in Loop: Header=BB12_935 Depth=2
	v_bfe_u32 v5, v12, 16, 1
	v_add3_u32 v5, v12, v5, s66
                                        ; implicit-def: $vgpr12_vgpr13
; %bb.984:                              ;   in Loop: Header=BB12_935 Depth=2
	s_andn2_saveexec_b64 s[20:21], s[20:21]
; %bb.985:                              ;   in Loop: Header=BB12_935 Depth=2
	v_or_b32_e32 v5, 0x10000, v12
	v_cmp_eq_u32_sdwa vcc, v12, v55 src0_sel:WORD_0 src1_sel:DWORD
	v_cndmask_b32_e32 v5, v5, v12, vcc
; %bb.986:                              ;   in Loop: Header=BB12_935 Depth=2
	s_or_b64 exec, exec, s[20:21]
	v_and_b32_e32 v6, 0xffff0000, v26
	v_and_b32_e32 v8, 0xffff0000, v25
	v_pk_add_f32 v[12:13], v[6:7], v[8:9] op_sel_hi:[0,1]
	v_and_b32_e32 v6, 0x7f800000, v12
	v_cmp_ne_u32_e32 vcc, s65, v6
                                        ; implicit-def: $vgpr25
	s_and_saveexec_b64 s[20:21], vcc
	s_xor_b64 s[20:21], exec, s[20:21]
; %bb.987:                              ;   in Loop: Header=BB12_935 Depth=2
	v_bfe_u32 v6, v12, 16, 1
	v_add3_u32 v25, v12, v6, s66
                                        ; implicit-def: $vgpr12_vgpr13
; %bb.988:                              ;   in Loop: Header=BB12_935 Depth=2
	s_andn2_saveexec_b64 s[20:21], s[20:21]
; %bb.989:                              ;   in Loop: Header=BB12_935 Depth=2
	v_or_b32_e32 v6, 0x10000, v12
	v_cmp_eq_u32_sdwa vcc, v12, v55 src0_sel:WORD_0 src1_sel:DWORD
	v_cndmask_b32_e32 v25, v6, v12, vcc
; %bb.990:                              ;   in Loop: Header=BB12_935 Depth=2
	s_or_b64 exec, exec, s[20:21]
	s_waitcnt vmcnt(1)
	v_lshlrev_b32_e32 v6, 16, v24
	v_lshlrev_b32_e32 v8, 16, v23
	v_pk_add_f32 v[12:13], v[6:7], v[8:9] op_sel_hi:[0,1]
	v_and_b32_e32 v6, 0x7f800000, v12
	v_cmp_ne_u32_e32 vcc, s65, v6
                                        ; implicit-def: $vgpr26
	s_and_saveexec_b64 s[20:21], vcc
	s_xor_b64 s[20:21], exec, s[20:21]
; %bb.991:                              ;   in Loop: Header=BB12_935 Depth=2
	v_bfe_u32 v6, v12, 16, 1
	v_add3_u32 v26, v12, v6, s66
                                        ; implicit-def: $vgpr12_vgpr13
; %bb.992:                              ;   in Loop: Header=BB12_935 Depth=2
	s_andn2_saveexec_b64 s[20:21], s[20:21]
; %bb.993:                              ;   in Loop: Header=BB12_935 Depth=2
	v_or_b32_e32 v6, 0x10000, v12
	v_cmp_eq_u32_sdwa vcc, v12, v55 src0_sel:WORD_0 src1_sel:DWORD
	v_cndmask_b32_e32 v26, v6, v12, vcc
; %bb.994:                              ;   in Loop: Header=BB12_935 Depth=2
	s_or_b64 exec, exec, s[20:21]
	v_and_b32_e32 v6, 0xffff0000, v24
	v_and_b32_e32 v8, 0xffff0000, v23
	v_pk_add_f32 v[12:13], v[6:7], v[8:9] op_sel_hi:[0,1]
	v_and_b32_e32 v6, 0x7f800000, v12
	v_cmp_ne_u32_e32 vcc, s65, v6
                                        ; implicit-def: $vgpr23
	s_and_saveexec_b64 s[20:21], vcc
	s_xor_b64 s[20:21], exec, s[20:21]
; %bb.995:                              ;   in Loop: Header=BB12_935 Depth=2
	v_bfe_u32 v6, v12, 16, 1
	v_add3_u32 v23, v12, v6, s66
                                        ; implicit-def: $vgpr12_vgpr13
; %bb.996:                              ;   in Loop: Header=BB12_935 Depth=2
	s_andn2_saveexec_b64 s[20:21], s[20:21]
; %bb.997:                              ;   in Loop: Header=BB12_935 Depth=2
	v_or_b32_e32 v6, 0x10000, v12
	v_cmp_eq_u32_sdwa vcc, v12, v55 src0_sel:WORD_0 src1_sel:DWORD
	v_cndmask_b32_e32 v23, v6, v12, vcc
; %bb.998:                              ;   in Loop: Header=BB12_935 Depth=2
	s_or_b64 exec, exec, s[20:21]
	s_waitcnt vmcnt(0)
	v_lshlrev_b32_e32 v6, 16, v21
	v_lshlrev_b32_e32 v8, 16, v4
	v_pk_add_f32 v[12:13], v[6:7], v[8:9] op_sel_hi:[0,1]
	v_and_b32_e32 v6, 0x7f800000, v12
	v_cmp_ne_u32_e32 vcc, s65, v6
                                        ; implicit-def: $vgpr6
	s_and_saveexec_b64 s[20:21], vcc
	s_xor_b64 s[20:21], exec, s[20:21]
; %bb.999:                              ;   in Loop: Header=BB12_935 Depth=2
	v_bfe_u32 v6, v12, 16, 1
	v_add3_u32 v6, v12, v6, s66
                                        ; implicit-def: $vgpr12_vgpr13
; %bb.1000:                             ;   in Loop: Header=BB12_935 Depth=2
	s_andn2_saveexec_b64 s[20:21], s[20:21]
; %bb.1001:                             ;   in Loop: Header=BB12_935 Depth=2
	v_or_b32_e32 v6, 0x10000, v12
	v_cmp_eq_u32_sdwa vcc, v12, v55 src0_sel:WORD_0 src1_sel:DWORD
	v_cndmask_b32_e32 v6, v6, v12, vcc
; %bb.1002:                             ;   in Loop: Header=BB12_935 Depth=2
	s_or_b64 exec, exec, s[20:21]
	v_and_b32_e32 v8, 0xffff0000, v21
	v_and_b32_e32 v4, 0xffff0000, v4
	v_pk_add_f32 v[12:13], v[8:9], v[4:5] op_sel_hi:[0,1]
	v_and_b32_e32 v4, 0x7f800000, v12
	v_cmp_ne_u32_e32 vcc, s65, v4
                                        ; implicit-def: $vgpr4
	s_and_saveexec_b64 s[20:21], vcc
	s_xor_b64 s[20:21], exec, s[20:21]
; %bb.1003:                             ;   in Loop: Header=BB12_935 Depth=2
	v_bfe_u32 v4, v12, 16, 1
	v_add3_u32 v4, v12, v4, s66
                                        ; implicit-def: $vgpr12_vgpr13
; %bb.1004:                             ;   in Loop: Header=BB12_935 Depth=2
	s_andn2_saveexec_b64 s[20:21], s[20:21]
; %bb.1005:                             ;   in Loop: Header=BB12_935 Depth=2
	v_or_b32_e32 v4, 0x10000, v12
	v_cmp_eq_u32_sdwa vcc, v12, v55 src0_sel:WORD_0 src1_sel:DWORD
	v_cndmask_b32_e32 v4, v4, v12, vcc
; %bb.1006:                             ;   in Loop: Header=BB12_935 Depth=2
	s_or_b64 exec, exec, s[20:21]
	v_lshrrev_b32_e32 v5, 16, v5
	v_and_or_b32 v25, v25, s67, v5
	v_lshrrev_b32_e32 v5, 16, v15
	v_and_or_b32 v24, v22, s67, v5
	;; [unrolled: 2-line block ×4, first 2 shown]
	buffer_store_dword v25, off, s[0:3], s33 offset:148
	buffer_store_dword v24, off, s[0:3], s33 offset:144
	;; [unrolled: 1-line block ×4, first 2 shown]
	global_store_dwordx4 v[0:1], v[24:27], off glc slc
	v_add_co_u32_e32 v0, vcc, 0x400, v0
	v_sub_u32_e32 v20, v20, v42
	v_addc_co_u32_e32 v1, vcc, 0, v1, vcc
	s_and_saveexec_b64 s[20:21], s[52:53]
	s_cbranch_execz .LBB12_934
; %bb.1007:                             ;   in Loop: Header=BB12_935 Depth=2
	v_accvgpr_read_b32 v4, a30
	v_add_co_u32_e32 v2, vcc, v2, v4
	v_accvgpr_read_b32 v5, a31
	v_addc_co_u32_e32 v3, vcc, v3, v5, vcc
	v_add_co_u32_e32 v10, vcc, v10, v4
	v_addc_co_u32_e32 v11, vcc, v11, v5, vcc
	v_add_co_u32_e32 v0, vcc, v0, v4
	v_addc_co_u32_e32 v1, vcc, v1, v5, vcc
	v_sub_u32_e32 v14, v14, v40
	v_sub_u32_e32 v20, v20, v42
	s_branch .LBB12_934
.LBB12_1008:                            ;   in Loop: Header=BB12_659 Depth=1
	s_or_b64 exec, exec, s[48:49]
	s_and_b64 s[22:23], s[50:51], exec
.LBB12_1009:                            ;   in Loop: Header=BB12_659 Depth=1
	s_or_b64 exec, exec, s[46:47]
	s_and_saveexec_b64 s[20:21], s[22:23]
	s_cbranch_execz .LBB12_1043
; %bb.1010:                             ;   in Loop: Header=BB12_659 Depth=1
	buffer_load_dword v6, off, s[0:3], s33 offset:192
	buffer_load_dword v5, off, s[0:3], s33 offset:176
	;; [unrolled: 1-line block ×8, first 2 shown]
                                        ; implicit-def: $vgpr10
	s_waitcnt vmcnt(0)
	v_lshlrev_b32_e32 v2, 16, v6
	s_waitcnt vmcnt(6)
	v_lshlrev_b32_e32 v8, 16, v5
	v_pk_add_f32 v[2:3], v[2:3], v[8:9] op_sel_hi:[0,1]
	v_and_b32_e32 v3, 0x7f800000, v2
	v_cmp_ne_u32_e32 vcc, s65, v3
	s_and_saveexec_b64 s[22:23], vcc
	s_xor_b64 s[22:23], exec, s[22:23]
; %bb.1011:                             ;   in Loop: Header=BB12_659 Depth=1
	v_bfe_u32 v3, v2, 16, 1
	v_add3_u32 v10, v2, v3, s66
                                        ; implicit-def: $vgpr2_vgpr3
; %bb.1012:                             ;   in Loop: Header=BB12_659 Depth=1
	s_andn2_saveexec_b64 s[22:23], s[22:23]
; %bb.1013:                             ;   in Loop: Header=BB12_659 Depth=1
	v_or_b32_e32 v3, 0x10000, v2
	v_cmp_eq_u32_sdwa vcc, v2, v55 src0_sel:WORD_0 src1_sel:DWORD
	v_cndmask_b32_e32 v10, v3, v2, vcc
; %bb.1014:                             ;   in Loop: Header=BB12_659 Depth=1
	s_or_b64 exec, exec, s[22:23]
	v_and_b32_e32 v2, 0xffff0000, v6
	v_and_b32_e32 v6, 0xffff0000, v5
	v_pk_add_f32 v[2:3], v[2:3], v[6:7] op_sel_hi:[0,1]
	v_and_b32_e32 v3, 0x7f800000, v2
	v_cmp_ne_u32_e32 vcc, s65, v3
                                        ; implicit-def: $vgpr12
	s_and_saveexec_b64 s[22:23], vcc
	s_xor_b64 s[22:23], exec, s[22:23]
; %bb.1015:                             ;   in Loop: Header=BB12_659 Depth=1
	v_bfe_u32 v3, v2, 16, 1
	v_add3_u32 v12, v2, v3, s66
                                        ; implicit-def: $vgpr2_vgpr3
; %bb.1016:                             ;   in Loop: Header=BB12_659 Depth=1
	s_andn2_saveexec_b64 s[22:23], s[22:23]
; %bb.1017:                             ;   in Loop: Header=BB12_659 Depth=1
	v_or_b32_e32 v3, 0x10000, v2
	v_cmp_eq_u32_sdwa vcc, v2, v55 src0_sel:WORD_0 src1_sel:DWORD
	v_cndmask_b32_e32 v12, v3, v2, vcc
; %bb.1018:                             ;   in Loop: Header=BB12_659 Depth=1
	s_or_b64 exec, exec, s[22:23]
	s_waitcnt vmcnt(2)
	v_lshlrev_b32_e32 v2, 16, v21
	v_lshlrev_b32_e32 v6, 16, v15
	v_pk_add_f32 v[2:3], v[2:3], v[6:7] op_sel_hi:[0,1]
	v_and_b32_e32 v3, 0x7f800000, v2
	v_cmp_ne_u32_e32 vcc, s65, v3
                                        ; implicit-def: $vgpr5
	s_and_saveexec_b64 s[22:23], vcc
	s_xor_b64 s[22:23], exec, s[22:23]
; %bb.1019:                             ;   in Loop: Header=BB12_659 Depth=1
	v_bfe_u32 v3, v2, 16, 1
	v_add3_u32 v5, v2, v3, s66
                                        ; implicit-def: $vgpr2_vgpr3
; %bb.1020:                             ;   in Loop: Header=BB12_659 Depth=1
	s_andn2_saveexec_b64 s[22:23], s[22:23]
; %bb.1021:                             ;   in Loop: Header=BB12_659 Depth=1
	v_or_b32_e32 v3, 0x10000, v2
	v_cmp_eq_u32_sdwa vcc, v2, v55 src0_sel:WORD_0 src1_sel:DWORD
	v_cndmask_b32_e32 v5, v3, v2, vcc
; %bb.1022:                             ;   in Loop: Header=BB12_659 Depth=1
	s_or_b64 exec, exec, s[22:23]
	v_and_b32_e32 v2, 0xffff0000, v21
	v_and_b32_e32 v6, 0xffff0000, v15
	v_pk_add_f32 v[2:3], v[2:3], v[6:7] op_sel_hi:[0,1]
	v_and_b32_e32 v3, 0x7f800000, v2
	v_cmp_ne_u32_e32 vcc, s65, v3
                                        ; implicit-def: $vgpr15
	s_and_saveexec_b64 s[22:23], vcc
	s_xor_b64 s[22:23], exec, s[22:23]
; %bb.1023:                             ;   in Loop: Header=BB12_659 Depth=1
	v_bfe_u32 v3, v2, 16, 1
	v_add3_u32 v15, v2, v3, s66
                                        ; implicit-def: $vgpr2_vgpr3
; %bb.1024:                             ;   in Loop: Header=BB12_659 Depth=1
	s_andn2_saveexec_b64 s[22:23], s[22:23]
; %bb.1025:                             ;   in Loop: Header=BB12_659 Depth=1
	v_or_b32_e32 v3, 0x10000, v2
	v_cmp_eq_u32_sdwa vcc, v2, v55 src0_sel:WORD_0 src1_sel:DWORD
	v_cndmask_b32_e32 v15, v3, v2, vcc
; %bb.1026:                             ;   in Loop: Header=BB12_659 Depth=1
	s_or_b64 exec, exec, s[22:23]
	s_waitcnt vmcnt(1)
	v_lshlrev_b32_e32 v2, 16, v14
	v_lshlrev_b32_e32 v6, 16, v13
	v_pk_add_f32 v[2:3], v[2:3], v[6:7] op_sel_hi:[0,1]
	v_and_b32_e32 v3, 0x7f800000, v2
	v_cmp_ne_u32_e32 vcc, s65, v3
                                        ; implicit-def: $vgpr21
	s_and_saveexec_b64 s[22:23], vcc
	s_xor_b64 s[22:23], exec, s[22:23]
; %bb.1027:                             ;   in Loop: Header=BB12_659 Depth=1
	v_bfe_u32 v3, v2, 16, 1
	v_add3_u32 v21, v2, v3, s66
                                        ; implicit-def: $vgpr2_vgpr3
; %bb.1028:                             ;   in Loop: Header=BB12_659 Depth=1
	s_andn2_saveexec_b64 s[22:23], s[22:23]
; %bb.1029:                             ;   in Loop: Header=BB12_659 Depth=1
	v_or_b32_e32 v3, 0x10000, v2
	v_cmp_eq_u32_sdwa vcc, v2, v55 src0_sel:WORD_0 src1_sel:DWORD
	v_cndmask_b32_e32 v21, v3, v2, vcc
; %bb.1030:                             ;   in Loop: Header=BB12_659 Depth=1
	s_or_b64 exec, exec, s[22:23]
	v_and_b32_e32 v2, 0xffff0000, v14
	v_and_b32_e32 v6, 0xffff0000, v13
	v_pk_add_f32 v[2:3], v[2:3], v[6:7] op_sel_hi:[0,1]
	v_and_b32_e32 v3, 0x7f800000, v2
	v_cmp_ne_u32_e32 vcc, s65, v3
                                        ; implicit-def: $vgpr13
	s_and_saveexec_b64 s[22:23], vcc
	s_xor_b64 s[22:23], exec, s[22:23]
; %bb.1031:                             ;   in Loop: Header=BB12_659 Depth=1
	v_bfe_u32 v3, v2, 16, 1
	v_add3_u32 v13, v2, v3, s66
                                        ; implicit-def: $vgpr2_vgpr3
; %bb.1032:                             ;   in Loop: Header=BB12_659 Depth=1
	s_andn2_saveexec_b64 s[22:23], s[22:23]
; %bb.1033:                             ;   in Loop: Header=BB12_659 Depth=1
	v_or_b32_e32 v3, 0x10000, v2
	v_cmp_eq_u32_sdwa vcc, v2, v55 src0_sel:WORD_0 src1_sel:DWORD
	v_cndmask_b32_e32 v13, v3, v2, vcc
; %bb.1034:                             ;   in Loop: Header=BB12_659 Depth=1
	s_or_b64 exec, exec, s[22:23]
	s_waitcnt vmcnt(0)
	v_lshlrev_b32_e32 v2, 16, v11
	v_lshlrev_b32_e32 v6, 16, v4
	v_pk_add_f32 v[2:3], v[2:3], v[6:7] op_sel_hi:[0,1]
	v_and_b32_e32 v3, 0x7f800000, v2
	v_cmp_ne_u32_e32 vcc, s65, v3
                                        ; implicit-def: $vgpr6
	s_and_saveexec_b64 s[22:23], vcc
	s_xor_b64 s[22:23], exec, s[22:23]
; %bb.1035:                             ;   in Loop: Header=BB12_659 Depth=1
	v_bfe_u32 v3, v2, 16, 1
	v_add3_u32 v6, v2, v3, s66
                                        ; implicit-def: $vgpr2_vgpr3
; %bb.1036:                             ;   in Loop: Header=BB12_659 Depth=1
	s_andn2_saveexec_b64 s[22:23], s[22:23]
; %bb.1037:                             ;   in Loop: Header=BB12_659 Depth=1
	v_or_b32_e32 v3, 0x10000, v2
	v_cmp_eq_u32_sdwa vcc, v2, v55 src0_sel:WORD_0 src1_sel:DWORD
	v_cndmask_b32_e32 v6, v3, v2, vcc
; %bb.1038:                             ;   in Loop: Header=BB12_659 Depth=1
	s_or_b64 exec, exec, s[22:23]
	v_and_b32_e32 v2, 0xffff0000, v11
	v_and_b32_e32 v4, 0xffff0000, v4
	v_pk_add_f32 v[2:3], v[2:3], v[4:5] op_sel_hi:[0,1]
	v_and_b32_e32 v3, 0x7f800000, v2
	v_cmp_ne_u32_e32 vcc, s65, v3
                                        ; implicit-def: $vgpr4
	s_and_saveexec_b64 s[22:23], vcc
	s_xor_b64 s[22:23], exec, s[22:23]
; %bb.1039:                             ;   in Loop: Header=BB12_659 Depth=1
	v_bfe_u32 v3, v2, 16, 1
	v_add3_u32 v4, v2, v3, s66
                                        ; implicit-def: $vgpr2_vgpr3
; %bb.1040:                             ;   in Loop: Header=BB12_659 Depth=1
	s_andn2_saveexec_b64 s[22:23], s[22:23]
; %bb.1041:                             ;   in Loop: Header=BB12_659 Depth=1
	v_or_b32_e32 v3, 0x10000, v2
	v_cmp_eq_u32_sdwa vcc, v2, v55 src0_sel:WORD_0 src1_sel:DWORD
	v_cndmask_b32_e32 v4, v3, v2, vcc
; %bb.1042:                             ;   in Loop: Header=BB12_659 Depth=1
	s_or_b64 exec, exec, s[22:23]
	v_lshrrev_b32_e32 v2, 16, v5
	v_and_or_b32 v9, v15, s67, v2
	v_lshrrev_b32_e32 v2, 16, v10
	v_and_or_b32 v8, v12, s67, v2
	;; [unrolled: 2-line block ×4, first 2 shown]
	global_store_dwordx4 v[0:1], v[8:11], off glc slc
.LBB12_1043:                            ;   in Loop: Header=BB12_659 Depth=1
	s_or_b64 exec, exec, s[20:21]
	v_and_b32_e32 v1, 14, v32
	v_cndmask_b32_e64 v32, v19, v1, s[18:19]
	v_cmp_ne_u32_e32 vcc, 0, v32
	s_mov_b64 s[20:21], 0
	v_mov_b32_e32 v14, 0
                                        ; implicit-def: $vgpr15
                                        ; implicit-def: $vgpr0
                                        ; implicit-def: $agpr46_agpr47
	s_and_saveexec_b64 s[22:23], vcc
	s_cbranch_execz .LBB12_1045
; %bb.1044:                             ;   in Loop: Header=BB12_659 Depth=1
	v_sub_u32_e32 v0, v19, v1
	v_cndmask_b32_e64 v0, 0, v0, s[18:19]
	v_cmp_lt_i32_e32 vcc, 0, v20
	v_add3_u32 v14, v18, v16, v0
	v_cndmask_b32_e32 v0, 0, v42, vcc
	v_sub_u32_e32 v0, v0, v20
	v_lshl_add_u32 v1, v0, 6, v17
	v_ashrrev_i32_e32 v0, 31, v1
	v_lshrrev_b32_e32 v0, 26, v0
	s_trap 2
	ds_read_b64 a[46:47], v0
	v_add_u32_e32 v2, v1, v0
	v_ashrrev_i32_e32 v0, 6, v2
	v_and_b32_e32 v2, 0xffffffc0, v2
	s_mov_b64 s[20:21], exec
	v_sub_u32_e32 v15, v1, v2
.LBB12_1045:                            ;   in Loop: Header=BB12_659 Depth=1
	s_or_b64 exec, exec, s[22:23]
	s_and_b64 s[18:19], s[20:21], exec
.LBB12_1046:                            ;   in Loop: Header=BB12_659 Depth=1
	s_or_b64 exec, exec, s[44:45]
	v_accvgpr_read_b32 v25, a1
	v_accvgpr_read_b32 v51, a13
	v_accvgpr_read_b32 v27, a5
	v_accvgpr_read_b32 v53, a15
	v_accvgpr_read_b32 v24, a0
	v_accvgpr_read_b32 v50, a12
	v_accvgpr_read_b32 v49, a11
	v_accvgpr_read_b32 v48, a10
	v_accvgpr_read_b32 v26, a4
	v_accvgpr_read_b32 v52, a14
	v_accvgpr_read_b32 v22, a39
	s_and_saveexec_b64 s[22:23], s[18:19]
	s_cbranch_execz .LBB12_1179
.LBB12_1047:                            ;   in Loop: Header=BB12_659 Depth=1
	v_lshlrev_b32_e32 v1, 10, v0
	v_lshlrev_b32_e32 v2, 1, v15
	v_add3_u32 v10, v14, v2, v1
	v_ashrrev_i32_e32 v1, 31, v32
	v_lshrrev_b32_e32 v1, 22, v1
	v_add_u32_e32 v1, v32, v1
	v_ashrrev_i32_e32 v16, 10, v1
	v_sub_u32_e32 v12, v16, v0
	s_waitcnt lgkmcnt(0)
	v_accvgpr_read_b32 v0, a46
	v_ashrrev_i32_e32 v11, 31, v10
	v_accvgpr_read_b32 v1, a47
	v_add_co_u32_e32 v0, vcc, v0, v10
	v_addc_co_u32_e32 v1, vcc, v1, v11, vcc
	v_mov_b32_e32 v59, v28
	v_mov_b32_e32 v60, v32
	v_cmp_lt_i32_e32 vcc, 0, v12
	s_mov_b64 s[20:21], 0
	v_mov_b32_e32 v38, 0
	v_mov_b32_e32 v5, 0
	;; [unrolled: 1-line block ×16, first 2 shown]
	s_and_saveexec_b64 s[18:19], vcc
	s_cbranch_execz .LBB12_1119
; %bb.1048:                             ;   in Loop: Header=BB12_659 Depth=1
	s_trap 2
	ds_read_b128 v[2:5], v0
	v_accvgpr_write_b32 a4, v26
	v_accvgpr_write_b32 a10, v48
	v_mov_b32_e32 v54, v22
	v_accvgpr_write_b32 a5, v27
	s_waitcnt lgkmcnt(0)
	v_add_co_u32_e32 v2, vcc, v2, v10
	v_addc_co_u32_e32 v3, vcc, v3, v11, vcc
	v_add_co_u32_e32 v10, vcc, v4, v10
	v_accvgpr_write_b32 a11, v49
	v_accvgpr_write_b32 a12, v50
	;; [unrolled: 1-line block ×3, first 2 shown]
	v_mov_b32_e32 v52, v29
	v_addc_co_u32_e32 v11, vcc, v5, v11, vcc
	s_mov_b64 s[46:47], 0
	s_mov_b64 s[44:45], 0
                                        ; implicit-def: $sgpr20_sgpr21
                                        ; implicit-def: $vgpr51
                                        ; implicit-def: $vgpr48
                                        ; implicit-def: $vgpr37
                                        ; implicit-def: $vgpr34
                                        ; implicit-def: $vgpr29
                                        ; implicit-def: $vgpr27
                                        ; implicit-def: $vgpr26
                                        ; implicit-def: $vgpr25
                                        ; implicit-def: $vgpr17
                                        ; implicit-def: $vgpr18
                                        ; implicit-def: $vgpr19
                                        ; implicit-def: $vgpr20
                                        ; implicit-def: $vgpr21
                                        ; implicit-def: $vgpr22
                                        ; implicit-def: $vgpr23
                                        ; implicit-def: $vgpr24
	s_branch .LBB12_1050
.LBB12_1049:                            ;   in Loop: Header=BB12_1050 Depth=2
	s_or_b64 exec, exec, s[48:49]
	flat_store_short_d16_hi v[0:1], v53 glc slc
	flat_store_short_d16_hi v[0:1], v4 offset:128 glc slc
	flat_store_short_d16_hi v[0:1], v5 offset:256 glc slc
	;; [unrolled: 1-line block ×7, first 2 shown]
	v_accvgpr_read_b32 v6, a30
	v_add_co_u32_e32 v4, vcc, v2, v6
	v_accvgpr_read_b32 v7, a31
	v_addc_co_u32_e32 v5, vcc, v3, v7, vcc
	v_add_co_u32_e32 v6, vcc, v10, v6
	v_accvgpr_read_b32 v9, a32
	v_mov_b32_e32 v12, 0x400
	v_addc_co_u32_e32 v7, vcc, v11, v7, vcc
	v_accvgpr_read_b32 v8, a33
	v_cndmask_b32_e64 v9, v12, v9, s[46:47]
	v_cndmask_b32_e64 v8, 0, v8, s[46:47]
	v_add_co_u32_e32 v0, vcc, v0, v9
	v_cndmask_b32_e64 v2, v2, v4, s[46:47]
	v_cndmask_b32_e64 v4, 0, v42, s[46:47]
	v_addc_co_u32_e32 v1, vcc, v1, v8, vcc
	v_sub_u32_e32 v12, v58, v4
	v_cmp_gt_i32_e32 vcc, 1, v12
	s_or_b64 s[44:45], vcc, s[44:45]
	s_andn2_b64 s[20:21], s[20:21], exec
	s_and_b64 vcc, s[46:47], exec
	v_cndmask_b32_e64 v3, v3, v5, s[46:47]
	v_cndmask_b32_e64 v11, v11, v7, s[46:47]
	;; [unrolled: 1-line block ×3, first 2 shown]
	s_or_b64 s[20:21], s[20:21], vcc
	s_andn2_b64 exec, exec, s[44:45]
	s_cbranch_execz .LBB12_1118
.LBB12_1050:                            ;   Parent Loop BB12_659 Depth=1
                                        ; =>  This Inner Loop Header: Depth=2
	flat_load_ushort v13, v[2:3] glc slc
	flat_load_ushort v45, v[2:3] offset:128 glc slc
	flat_load_ushort v41, v[2:3] offset:256 glc slc
	;; [unrolled: 1-line block ×7, first 2 shown]
	flat_load_ushort v57, v[10:11] glc slc
	flat_load_ushort v56, v[10:11] offset:128 glc slc
	flat_load_ushort v44, v[10:11] offset:256 glc slc
	;; [unrolled: 1-line block ×7, first 2 shown]
	s_and_saveexec_b64 s[48:49], s[46:47]
	s_cbranch_execz .LBB12_1084
; %bb.1051:                             ;   in Loop: Header=BB12_1050 Depth=2
	v_lshlrev_b32_e32 v4, 16, v51
	v_lshlrev_b32_e32 v5, 16, v17
	v_add_f32_e32 v4, v4, v5
	v_and_b32_e32 v5, 0x7f800000, v4
	v_cmp_ne_u32_e32 vcc, s65, v5
                                        ; implicit-def: $vgpr51
	s_and_saveexec_b64 s[46:47], vcc
	s_xor_b64 vcc, exec, s[46:47]
; %bb.1052:                             ;   in Loop: Header=BB12_1050 Depth=2
	v_bfe_u32 v5, v4, 16, 1
	v_add3_u32 v51, v4, v5, s66
                                        ; implicit-def: $vgpr4
; %bb.1053:                             ;   in Loop: Header=BB12_1050 Depth=2
	s_andn2_saveexec_b64 s[46:47], vcc
; %bb.1054:                             ;   in Loop: Header=BB12_1050 Depth=2
	v_or_b32_e32 v5, 0x10000, v4
	v_cmp_eq_u32_sdwa vcc, v4, v55 src0_sel:WORD_0 src1_sel:DWORD
	v_cndmask_b32_e32 v51, v5, v4, vcc
; %bb.1055:                             ;   in Loop: Header=BB12_1050 Depth=2
	s_or_b64 exec, exec, s[46:47]
	v_lshlrev_b32_e32 v4, 16, v48
	v_lshlrev_b32_e32 v5, 16, v18
	v_add_f32_e32 v5, v4, v5
	v_and_b32_e32 v4, 0x7f800000, v5
	v_cmp_ne_u32_e32 vcc, s65, v4
                                        ; implicit-def: $vgpr4
	s_and_saveexec_b64 s[46:47], vcc
	s_xor_b64 vcc, exec, s[46:47]
; %bb.1056:                             ;   in Loop: Header=BB12_1050 Depth=2
	v_bfe_u32 v4, v5, 16, 1
	v_add3_u32 v4, v5, v4, s66
                                        ; implicit-def: $vgpr5
; %bb.1057:                             ;   in Loop: Header=BB12_1050 Depth=2
	s_andn2_saveexec_b64 s[46:47], vcc
; %bb.1058:                             ;   in Loop: Header=BB12_1050 Depth=2
	v_or_b32_e32 v4, 0x10000, v5
	v_cmp_eq_u32_sdwa vcc, v5, v55 src0_sel:WORD_0 src1_sel:DWORD
	v_cndmask_b32_e32 v4, v4, v5, vcc
; %bb.1059:                             ;   in Loop: Header=BB12_1050 Depth=2
	s_or_b64 exec, exec, s[46:47]
	v_lshlrev_b32_e32 v5, 16, v37
	v_lshlrev_b32_e32 v6, 16, v19
	v_add_f32_e32 v6, v5, v6
	v_and_b32_e32 v5, 0x7f800000, v6
	v_cmp_ne_u32_e32 vcc, s65, v5
                                        ; implicit-def: $vgpr5
	s_and_saveexec_b64 s[46:47], vcc
	s_xor_b64 vcc, exec, s[46:47]
; %bb.1060:                             ;   in Loop: Header=BB12_1050 Depth=2
	v_bfe_u32 v5, v6, 16, 1
	v_add3_u32 v5, v6, v5, s66
                                        ; implicit-def: $vgpr6
; %bb.1061:                             ;   in Loop: Header=BB12_1050 Depth=2
	s_andn2_saveexec_b64 s[46:47], vcc
; %bb.1062:                             ;   in Loop: Header=BB12_1050 Depth=2
	v_or_b32_e32 v5, 0x10000, v6
	v_cmp_eq_u32_sdwa vcc, v6, v55 src0_sel:WORD_0 src1_sel:DWORD
	v_cndmask_b32_e32 v5, v5, v6, vcc
; %bb.1063:                             ;   in Loop: Header=BB12_1050 Depth=2
	s_or_b64 exec, exec, s[46:47]
	v_lshlrev_b32_e32 v6, 16, v34
	v_lshlrev_b32_e32 v7, 16, v20
	v_add_f32_e32 v6, v6, v7
	v_and_b32_e32 v7, 0x7f800000, v6
	v_cmp_ne_u32_e32 vcc, s65, v7
                                        ; implicit-def: $vgpr34
	s_and_saveexec_b64 s[46:47], vcc
	s_xor_b64 vcc, exec, s[46:47]
; %bb.1064:                             ;   in Loop: Header=BB12_1050 Depth=2
	v_bfe_u32 v7, v6, 16, 1
	v_add3_u32 v34, v6, v7, s66
                                        ; implicit-def: $vgpr6
; %bb.1065:                             ;   in Loop: Header=BB12_1050 Depth=2
	s_andn2_saveexec_b64 s[46:47], vcc
; %bb.1066:                             ;   in Loop: Header=BB12_1050 Depth=2
	v_or_b32_e32 v7, 0x10000, v6
	v_cmp_eq_u32_sdwa vcc, v6, v55 src0_sel:WORD_0 src1_sel:DWORD
	v_cndmask_b32_e32 v34, v7, v6, vcc
; %bb.1067:                             ;   in Loop: Header=BB12_1050 Depth=2
	s_or_b64 exec, exec, s[46:47]
	v_lshlrev_b32_e32 v6, 16, v29
	v_lshlrev_b32_e32 v7, 16, v21
	v_add_f32_e32 v6, v6, v7
	v_and_b32_e32 v7, 0x7f800000, v6
	v_cmp_ne_u32_e32 vcc, s65, v7
                                        ; implicit-def: $vgpr29
	s_and_saveexec_b64 s[46:47], vcc
	s_xor_b64 vcc, exec, s[46:47]
; %bb.1068:                             ;   in Loop: Header=BB12_1050 Depth=2
	v_bfe_u32 v7, v6, 16, 1
	v_add3_u32 v29, v6, v7, s66
                                        ; implicit-def: $vgpr6
; %bb.1069:                             ;   in Loop: Header=BB12_1050 Depth=2
	s_andn2_saveexec_b64 s[46:47], vcc
; %bb.1070:                             ;   in Loop: Header=BB12_1050 Depth=2
	v_or_b32_e32 v7, 0x10000, v6
	v_cmp_eq_u32_sdwa vcc, v6, v55 src0_sel:WORD_0 src1_sel:DWORD
	v_cndmask_b32_e32 v29, v7, v6, vcc
; %bb.1071:                             ;   in Loop: Header=BB12_1050 Depth=2
	s_or_b64 exec, exec, s[46:47]
	v_lshlrev_b32_e32 v6, 16, v27
	v_lshlrev_b32_e32 v7, 16, v22
	v_add_f32_e32 v6, v6, v7
	v_and_b32_e32 v7, 0x7f800000, v6
	v_cmp_ne_u32_e32 vcc, s65, v7
                                        ; implicit-def: $vgpr27
	s_and_saveexec_b64 s[46:47], vcc
	s_xor_b64 vcc, exec, s[46:47]
; %bb.1072:                             ;   in Loop: Header=BB12_1050 Depth=2
	v_bfe_u32 v7, v6, 16, 1
	v_add3_u32 v27, v6, v7, s66
                                        ; implicit-def: $vgpr6
; %bb.1073:                             ;   in Loop: Header=BB12_1050 Depth=2
	s_andn2_saveexec_b64 s[46:47], vcc
; %bb.1074:                             ;   in Loop: Header=BB12_1050 Depth=2
	v_or_b32_e32 v7, 0x10000, v6
	v_cmp_eq_u32_sdwa vcc, v6, v55 src0_sel:WORD_0 src1_sel:DWORD
	v_cndmask_b32_e32 v27, v7, v6, vcc
; %bb.1075:                             ;   in Loop: Header=BB12_1050 Depth=2
	s_or_b64 exec, exec, s[46:47]
	v_lshlrev_b32_e32 v6, 16, v26
	v_lshlrev_b32_e32 v7, 16, v23
	v_add_f32_e32 v7, v6, v7
	v_and_b32_e32 v6, 0x7f800000, v7
	v_cmp_ne_u32_e32 vcc, s65, v6
                                        ; implicit-def: $vgpr6
	s_and_saveexec_b64 s[46:47], vcc
	s_xor_b64 vcc, exec, s[46:47]
; %bb.1076:                             ;   in Loop: Header=BB12_1050 Depth=2
	v_bfe_u32 v6, v7, 16, 1
	v_add3_u32 v6, v7, v6, s66
                                        ; implicit-def: $vgpr7
; %bb.1077:                             ;   in Loop: Header=BB12_1050 Depth=2
	s_andn2_saveexec_b64 s[46:47], vcc
; %bb.1078:                             ;   in Loop: Header=BB12_1050 Depth=2
	v_or_b32_e32 v6, 0x10000, v7
	v_cmp_eq_u32_sdwa vcc, v7, v55 src0_sel:WORD_0 src1_sel:DWORD
	v_cndmask_b32_e32 v6, v6, v7, vcc
; %bb.1079:                             ;   in Loop: Header=BB12_1050 Depth=2
	s_or_b64 exec, exec, s[46:47]
	v_lshlrev_b32_e32 v7, 16, v25
	v_lshlrev_b32_e32 v8, 16, v24
	v_add_f32_e32 v8, v7, v8
	v_and_b32_e32 v7, 0x7f800000, v8
	v_cmp_ne_u32_e32 vcc, s65, v7
                                        ; implicit-def: $vgpr7
	s_and_saveexec_b64 s[46:47], vcc
	s_xor_b64 vcc, exec, s[46:47]
; %bb.1080:                             ;   in Loop: Header=BB12_1050 Depth=2
	v_bfe_u32 v7, v8, 16, 1
	v_add3_u32 v7, v8, v7, s66
                                        ; implicit-def: $vgpr8
; %bb.1081:                             ;   in Loop: Header=BB12_1050 Depth=2
	s_andn2_saveexec_b64 s[46:47], vcc
; %bb.1082:                             ;   in Loop: Header=BB12_1050 Depth=2
	v_or_b32_e32 v7, 0x10000, v8
	v_cmp_eq_u32_sdwa vcc, v8, v55 src0_sel:WORD_0 src1_sel:DWORD
	v_cndmask_b32_e32 v7, v7, v8, vcc
; %bb.1083:                             ;   in Loop: Header=BB12_1050 Depth=2
	s_or_b64 exec, exec, s[46:47]
	v_lshrrev_b32_e32 v48, 16, v4
	v_lshrrev_b32_e32 v51, 16, v51
	v_accvgpr_read_b32 v4, a32
	v_lshrrev_b32_e32 v26, 16, v6
	v_lshrrev_b32_e32 v27, 16, v27
	;; [unrolled: 1-line block ×6, first 2 shown]
	flat_store_short v[0:1], v51 glc slc
	flat_store_short v[0:1], v48 offset:128 glc slc
	flat_store_short v[0:1], v37 offset:256 glc slc
	;; [unrolled: 1-line block ×7, first 2 shown]
	v_add_co_u32_e32 v0, vcc, v0, v4
	v_accvgpr_read_b32 v4, a33
	v_addc_co_u32_e32 v1, vcc, v1, v4, vcc
.LBB12_1084:                            ;   in Loop: Header=BB12_1050 Depth=2
	s_or_b64 exec, exec, s[48:49]
	v_accvgpr_read_b32 v4, a32
	v_add_co_u32_e32 v2, vcc, v2, v4
	v_accvgpr_read_b32 v5, a33
	v_addc_co_u32_e32 v3, vcc, v3, v5, vcc
	v_add_co_u32_e32 v10, vcc, v10, v4
	v_sub_u32_e32 v58, v12, v42
	v_addc_co_u32_e32 v11, vcc, v11, v5, vcc
	v_cmp_lt_i32_e64 s[46:47], 0, v58
	s_and_saveexec_b64 s[48:49], s[46:47]
	s_cbranch_execz .LBB12_1086
; %bb.1085:                             ;   in Loop: Header=BB12_1050 Depth=2
	flat_load_ushort v51, v[2:3] glc slc
	flat_load_ushort v48, v[2:3] offset:128 glc slc
	flat_load_ushort v37, v[2:3] offset:256 glc slc
	;; [unrolled: 1-line block ×7, first 2 shown]
	flat_load_ushort v17, v[10:11] glc slc
	flat_load_ushort v18, v[10:11] offset:128 glc slc
	flat_load_ushort v19, v[10:11] offset:256 glc slc
	;; [unrolled: 1-line block ×7, first 2 shown]
	v_add_co_u32_e32 v2, vcc, 0x400, v2
	v_addc_co_u32_e32 v3, vcc, 0, v3, vcc
	v_add_co_u32_e32 v10, vcc, 0x400, v10
	v_addc_co_u32_e32 v11, vcc, 0, v11, vcc
.LBB12_1086:                            ;   in Loop: Header=BB12_1050 Depth=2
	s_or_b64 exec, exec, s[48:49]
	s_waitcnt vmcnt(0) lgkmcnt(0)
	v_lshlrev_b32_e32 v4, 16, v57
	v_lshlrev_b32_e32 v6, 16, v13
	v_pk_add_f32 v[12:13], v[4:5], v[6:7] op_sel_hi:[0,1]
	v_and_b32_e32 v4, 0x7f800000, v12
	v_cmp_ne_u32_e32 vcc, s65, v4
                                        ; implicit-def: $vgpr53
	s_and_saveexec_b64 s[48:49], vcc
	s_xor_b64 vcc, exec, s[48:49]
; %bb.1087:                             ;   in Loop: Header=BB12_1050 Depth=2
	v_bfe_u32 v4, v12, 16, 1
	v_add3_u32 v53, v12, v4, s66
                                        ; implicit-def: $vgpr12_vgpr13
; %bb.1088:                             ;   in Loop: Header=BB12_1050 Depth=2
	s_andn2_saveexec_b64 s[48:49], vcc
; %bb.1089:                             ;   in Loop: Header=BB12_1050 Depth=2
	v_or_b32_e32 v4, 0x10000, v12
	v_cmp_eq_u32_sdwa vcc, v12, v55 src0_sel:WORD_0 src1_sel:DWORD
	v_cndmask_b32_e32 v53, v4, v12, vcc
; %bb.1090:                             ;   in Loop: Header=BB12_1050 Depth=2
	s_or_b64 exec, exec, s[48:49]
	v_lshlrev_b32_e32 v4, 16, v56
	v_lshlrev_b32_e32 v6, 16, v45
	v_pk_add_f32 v[12:13], v[4:5], v[6:7] op_sel_hi:[0,1]
	v_and_b32_e32 v4, 0x7f800000, v12
	v_cmp_ne_u32_e32 vcc, s65, v4
                                        ; implicit-def: $vgpr4
	s_and_saveexec_b64 s[48:49], vcc
	s_xor_b64 vcc, exec, s[48:49]
; %bb.1091:                             ;   in Loop: Header=BB12_1050 Depth=2
	v_bfe_u32 v4, v12, 16, 1
	v_add3_u32 v4, v12, v4, s66
                                        ; implicit-def: $vgpr12_vgpr13
; %bb.1092:                             ;   in Loop: Header=BB12_1050 Depth=2
	s_andn2_saveexec_b64 s[48:49], vcc
; %bb.1093:                             ;   in Loop: Header=BB12_1050 Depth=2
	v_or_b32_e32 v4, 0x10000, v12
	v_cmp_eq_u32_sdwa vcc, v12, v55 src0_sel:WORD_0 src1_sel:DWORD
	v_cndmask_b32_e32 v4, v4, v12, vcc
; %bb.1094:                             ;   in Loop: Header=BB12_1050 Depth=2
	s_or_b64 exec, exec, s[48:49]
	v_lshlrev_b32_e32 v6, 16, v44
	v_lshlrev_b32_e32 v8, 16, v41
	v_pk_add_f32 v[12:13], v[6:7], v[8:9] op_sel_hi:[0,1]
	v_and_b32_e32 v5, 0x7f800000, v12
	v_cmp_ne_u32_e32 vcc, s65, v5
                                        ; implicit-def: $vgpr5
	s_and_saveexec_b64 s[48:49], vcc
	s_xor_b64 vcc, exec, s[48:49]
; %bb.1095:                             ;   in Loop: Header=BB12_1050 Depth=2
	v_bfe_u32 v5, v12, 16, 1
	v_add3_u32 v5, v12, v5, s66
                                        ; implicit-def: $vgpr12_vgpr13
; %bb.1096:                             ;   in Loop: Header=BB12_1050 Depth=2
	s_andn2_saveexec_b64 s[48:49], vcc
; %bb.1097:                             ;   in Loop: Header=BB12_1050 Depth=2
	v_or_b32_e32 v5, 0x10000, v12
	v_cmp_eq_u32_sdwa vcc, v12, v55 src0_sel:WORD_0 src1_sel:DWORD
	v_cndmask_b32_e32 v5, v5, v12, vcc
; %bb.1098:                             ;   in Loop: Header=BB12_1050 Depth=2
	s_or_b64 exec, exec, s[48:49]
	v_lshlrev_b32_e32 v6, 16, v40
	v_lshlrev_b32_e32 v8, 16, v50
	v_pk_add_f32 v[12:13], v[6:7], v[8:9] op_sel_hi:[0,1]
	v_and_b32_e32 v6, 0x7f800000, v12
	v_cmp_ne_u32_e32 vcc, s65, v6
                                        ; implicit-def: $vgpr50
	s_and_saveexec_b64 s[48:49], vcc
	s_xor_b64 vcc, exec, s[48:49]
; %bb.1099:                             ;   in Loop: Header=BB12_1050 Depth=2
	v_bfe_u32 v6, v12, 16, 1
	v_add3_u32 v50, v12, v6, s66
                                        ; implicit-def: $vgpr12_vgpr13
; %bb.1100:                             ;   in Loop: Header=BB12_1050 Depth=2
	s_andn2_saveexec_b64 s[48:49], vcc
; %bb.1101:                             ;   in Loop: Header=BB12_1050 Depth=2
	v_or_b32_e32 v6, 0x10000, v12
	v_cmp_eq_u32_sdwa vcc, v12, v55 src0_sel:WORD_0 src1_sel:DWORD
	v_cndmask_b32_e32 v50, v6, v12, vcc
; %bb.1102:                             ;   in Loop: Header=BB12_1050 Depth=2
	s_or_b64 exec, exec, s[48:49]
	v_lshlrev_b32_e32 v6, 16, v49
	v_lshlrev_b32_e32 v8, 16, v39
	v_pk_add_f32 v[12:13], v[6:7], v[8:9] op_sel_hi:[0,1]
	v_and_b32_e32 v6, 0x7f800000, v12
	v_cmp_ne_u32_e32 vcc, s65, v6
                                        ; implicit-def: $vgpr39
	s_and_saveexec_b64 s[48:49], vcc
	s_xor_b64 vcc, exec, s[48:49]
; %bb.1103:                             ;   in Loop: Header=BB12_1050 Depth=2
	v_bfe_u32 v6, v12, 16, 1
	v_add3_u32 v39, v12, v6, s66
                                        ; implicit-def: $vgpr12_vgpr13
; %bb.1104:                             ;   in Loop: Header=BB12_1050 Depth=2
	s_andn2_saveexec_b64 s[48:49], vcc
; %bb.1105:                             ;   in Loop: Header=BB12_1050 Depth=2
	v_or_b32_e32 v6, 0x10000, v12
	v_cmp_eq_u32_sdwa vcc, v12, v55 src0_sel:WORD_0 src1_sel:DWORD
	v_cndmask_b32_e32 v39, v6, v12, vcc
; %bb.1106:                             ;   in Loop: Header=BB12_1050 Depth=2
	s_or_b64 exec, exec, s[48:49]
	v_lshlrev_b32_e32 v6, 16, v38
	v_lshlrev_b32_e32 v8, 16, v36
	v_pk_add_f32 v[12:13], v[6:7], v[8:9] op_sel_hi:[0,1]
	v_and_b32_e32 v6, 0x7f800000, v12
	v_cmp_ne_u32_e32 vcc, s65, v6
                                        ; implicit-def: $vgpr36
	s_and_saveexec_b64 s[48:49], vcc
	s_xor_b64 vcc, exec, s[48:49]
; %bb.1107:                             ;   in Loop: Header=BB12_1050 Depth=2
	v_bfe_u32 v6, v12, 16, 1
	v_add3_u32 v36, v12, v6, s66
                                        ; implicit-def: $vgpr12_vgpr13
; %bb.1108:                             ;   in Loop: Header=BB12_1050 Depth=2
	s_andn2_saveexec_b64 s[48:49], vcc
; %bb.1109:                             ;   in Loop: Header=BB12_1050 Depth=2
	v_or_b32_e32 v6, 0x10000, v12
	v_cmp_eq_u32_sdwa vcc, v12, v55 src0_sel:WORD_0 src1_sel:DWORD
	v_cndmask_b32_e32 v36, v6, v12, vcc
; %bb.1110:                             ;   in Loop: Header=BB12_1050 Depth=2
	s_or_b64 exec, exec, s[48:49]
	v_lshlrev_b32_e32 v6, 16, v35
	v_lshlrev_b32_e32 v8, 16, v33
	v_pk_add_f32 v[12:13], v[6:7], v[8:9] op_sel_hi:[0,1]
	v_and_b32_e32 v6, 0x7f800000, v12
	v_cmp_ne_u32_e32 vcc, s65, v6
                                        ; implicit-def: $vgpr6
	s_and_saveexec_b64 s[48:49], vcc
	s_xor_b64 vcc, exec, s[48:49]
; %bb.1111:                             ;   in Loop: Header=BB12_1050 Depth=2
	v_bfe_u32 v6, v12, 16, 1
	v_add3_u32 v6, v12, v6, s66
                                        ; implicit-def: $vgpr12_vgpr13
; %bb.1112:                             ;   in Loop: Header=BB12_1050 Depth=2
	s_andn2_saveexec_b64 s[48:49], vcc
; %bb.1113:                             ;   in Loop: Header=BB12_1050 Depth=2
	v_or_b32_e32 v6, 0x10000, v12
	v_cmp_eq_u32_sdwa vcc, v12, v55 src0_sel:WORD_0 src1_sel:DWORD
	v_cndmask_b32_e32 v6, v6, v12, vcc
; %bb.1114:                             ;   in Loop: Header=BB12_1050 Depth=2
	s_or_b64 exec, exec, s[48:49]
	v_lshlrev_b32_e32 v8, 16, v32
	v_lshlrev_b32_e32 v12, 16, v28
	v_pk_add_f32 v[12:13], v[8:9], v[12:13] op_sel_hi:[0,1]
	v_and_b32_e32 v7, 0x7f800000, v12
	v_cmp_ne_u32_e32 vcc, s65, v7
                                        ; implicit-def: $vgpr7
	s_and_saveexec_b64 s[48:49], vcc
	s_xor_b64 vcc, exec, s[48:49]
; %bb.1115:                             ;   in Loop: Header=BB12_1050 Depth=2
	v_bfe_u32 v7, v12, 16, 1
	v_add3_u32 v7, v12, v7, s66
                                        ; implicit-def: $vgpr12_vgpr13
; %bb.1116:                             ;   in Loop: Header=BB12_1050 Depth=2
	s_andn2_saveexec_b64 s[48:49], vcc
	s_cbranch_execz .LBB12_1049
; %bb.1117:                             ;   in Loop: Header=BB12_1050 Depth=2
	v_or_b32_e32 v7, 0x10000, v12
	v_cmp_eq_u32_sdwa vcc, v12, v55 src0_sel:WORD_0 src1_sel:DWORD
	v_cndmask_b32_e32 v7, v7, v12, vcc
	s_branch .LBB12_1049
.LBB12_1118:                            ;   in Loop: Header=BB12_659 Depth=1
	s_or_b64 exec, exec, s[44:45]
	v_lshlrev_b32_e32 v38, 16, v51
	v_lshlrev_b32_e32 v6, 16, v17
	;; [unrolled: 1-line block ×9, first 2 shown]
	v_mov_b32_e32 v29, v52
	v_accvgpr_read_b32 v25, a1
	v_accvgpr_read_b32 v51, a13
	;; [unrolled: 1-line block ×4, first 2 shown]
	v_lshlrev_b32_e32 v36, 16, v18
	v_lshlrev_b32_e32 v33, 16, v37
	;; [unrolled: 1-line block ×7, first 2 shown]
	s_and_b64 s[20:21], s[20:21], exec
	v_accvgpr_read_b32 v24, a0
	v_accvgpr_read_b32 v50, a12
	;; [unrolled: 1-line block ×14, first 2 shown]
	v_mov_b32_e32 v22, v54
.LBB12_1119:                            ;   in Loop: Header=BB12_659 Depth=1
	s_or_b64 exec, exec, s[18:19]
	s_and_saveexec_b64 s[18:19], s[20:21]
	s_cbranch_execz .LBB12_1153
; %bb.1120:                             ;   in Loop: Header=BB12_659 Depth=1
	v_add_f32_e32 v6, v6, v38
	v_and_b32_e32 v7, 0x7f800000, v6
	v_cmp_ne_u32_e32 vcc, s65, v7
                                        ; implicit-def: $vgpr10
	s_and_saveexec_b64 s[20:21], vcc
	s_xor_b64 s[20:21], exec, s[20:21]
; %bb.1121:                             ;   in Loop: Header=BB12_659 Depth=1
	v_bfe_u32 v7, v6, 16, 1
	v_add3_u32 v10, v6, v7, s66
                                        ; implicit-def: $vgpr6
; %bb.1122:                             ;   in Loop: Header=BB12_659 Depth=1
	s_andn2_saveexec_b64 s[20:21], s[20:21]
; %bb.1123:                             ;   in Loop: Header=BB12_659 Depth=1
	v_or_b32_e32 v7, 0x10000, v6
	v_cmp_eq_u32_sdwa vcc, v6, v55 src0_sel:WORD_0 src1_sel:DWORD
	v_cndmask_b32_e32 v10, v7, v6, vcc
; %bb.1124:                             ;   in Loop: Header=BB12_659 Depth=1
	s_or_b64 exec, exec, s[20:21]
	v_add_f32_e32 v6, v36, v5
	v_and_b32_e32 v5, 0x7f800000, v6
	v_cmp_ne_u32_e32 vcc, s65, v5
                                        ; implicit-def: $vgpr5
	s_and_saveexec_b64 s[20:21], vcc
	s_xor_b64 s[20:21], exec, s[20:21]
; %bb.1125:                             ;   in Loop: Header=BB12_659 Depth=1
	v_bfe_u32 v5, v6, 16, 1
	v_add3_u32 v5, v6, v5, s66
                                        ; implicit-def: $vgpr6
; %bb.1126:                             ;   in Loop: Header=BB12_659 Depth=1
	s_andn2_saveexec_b64 s[20:21], s[20:21]
; %bb.1127:                             ;   in Loop: Header=BB12_659 Depth=1
	v_or_b32_e32 v5, 0x10000, v6
	v_cmp_eq_u32_sdwa vcc, v6, v55 src0_sel:WORD_0 src1_sel:DWORD
	v_cndmask_b32_e32 v5, v5, v6, vcc
; %bb.1128:                             ;   in Loop: Header=BB12_659 Depth=1
	s_or_b64 exec, exec, s[20:21]
	v_add_f32_e32 v6, v35, v33
	v_and_b32_e32 v7, 0x7f800000, v6
	v_cmp_ne_u32_e32 vcc, s65, v7
                                        ; implicit-def: $vgpr11
	s_and_saveexec_b64 s[20:21], vcc
	s_xor_b64 s[20:21], exec, s[20:21]
; %bb.1129:                             ;   in Loop: Header=BB12_659 Depth=1
	v_bfe_u32 v7, v6, 16, 1
	v_add3_u32 v11, v6, v7, s66
                                        ; implicit-def: $vgpr6
; %bb.1130:                             ;   in Loop: Header=BB12_659 Depth=1
	s_andn2_saveexec_b64 s[20:21], s[20:21]
; %bb.1131:                             ;   in Loop: Header=BB12_659 Depth=1
	v_or_b32_e32 v7, 0x10000, v6
	v_cmp_eq_u32_sdwa vcc, v6, v55 src0_sel:WORD_0 src1_sel:DWORD
	v_cndmask_b32_e32 v11, v7, v6, vcc
; %bb.1132:                             ;   in Loop: Header=BB12_659 Depth=1
	s_or_b64 exec, exec, s[20:21]
	v_add_f32_e32 v6, v32, v28
	v_and_b32_e32 v7, 0x7f800000, v6
	v_cmp_ne_u32_e32 vcc, s65, v7
                                        ; implicit-def: $vgpr21
	s_and_saveexec_b64 s[20:21], vcc
	s_xor_b64 s[20:21], exec, s[20:21]
; %bb.1133:                             ;   in Loop: Header=BB12_659 Depth=1
	v_bfe_u32 v7, v6, 16, 1
	v_add3_u32 v21, v6, v7, s66
                                        ; implicit-def: $vgpr6
; %bb.1134:                             ;   in Loop: Header=BB12_659 Depth=1
	s_andn2_saveexec_b64 s[20:21], s[20:21]
; %bb.1135:                             ;   in Loop: Header=BB12_659 Depth=1
	v_or_b32_e32 v7, 0x10000, v6
	v_cmp_eq_u32_sdwa vcc, v6, v55 src0_sel:WORD_0 src1_sel:DWORD
	v_cndmask_b32_e32 v21, v7, v6, vcc
; %bb.1136:                             ;   in Loop: Header=BB12_659 Depth=1
	s_or_b64 exec, exec, s[20:21]
	v_add_f32_e32 v6, v20, v19
	v_and_b32_e32 v7, 0x7f800000, v6
	v_cmp_ne_u32_e32 vcc, s65, v7
                                        ; implicit-def: $vgpr19
	s_and_saveexec_b64 s[20:21], vcc
	s_xor_b64 s[20:21], exec, s[20:21]
; %bb.1137:                             ;   in Loop: Header=BB12_659 Depth=1
	v_bfe_u32 v7, v6, 16, 1
	v_add3_u32 v19, v6, v7, s66
                                        ; implicit-def: $vgpr6
; %bb.1138:                             ;   in Loop: Header=BB12_659 Depth=1
	s_andn2_saveexec_b64 s[20:21], s[20:21]
; %bb.1139:                             ;   in Loop: Header=BB12_659 Depth=1
	v_or_b32_e32 v7, 0x10000, v6
	v_cmp_eq_u32_sdwa vcc, v6, v55 src0_sel:WORD_0 src1_sel:DWORD
	v_cndmask_b32_e32 v19, v7, v6, vcc
; %bb.1140:                             ;   in Loop: Header=BB12_659 Depth=1
	s_or_b64 exec, exec, s[20:21]
	v_add_f32_e32 v6, v18, v17
	v_and_b32_e32 v7, 0x7f800000, v6
	v_cmp_ne_u32_e32 vcc, s65, v7
                                        ; implicit-def: $vgpr17
	s_and_saveexec_b64 s[20:21], vcc
	s_xor_b64 s[20:21], exec, s[20:21]
; %bb.1141:                             ;   in Loop: Header=BB12_659 Depth=1
	v_bfe_u32 v7, v6, 16, 1
	v_add3_u32 v17, v6, v7, s66
                                        ; implicit-def: $vgpr6
; %bb.1142:                             ;   in Loop: Header=BB12_659 Depth=1
	s_andn2_saveexec_b64 s[20:21], s[20:21]
; %bb.1143:                             ;   in Loop: Header=BB12_659 Depth=1
	v_or_b32_e32 v7, 0x10000, v6
	v_cmp_eq_u32_sdwa vcc, v6, v55 src0_sel:WORD_0 src1_sel:DWORD
	v_cndmask_b32_e32 v17, v7, v6, vcc
; %bb.1144:                             ;   in Loop: Header=BB12_659 Depth=1
	s_or_b64 exec, exec, s[20:21]
	v_add_f32_e32 v6, v4, v13
	v_and_b32_e32 v4, 0x7f800000, v6
	v_cmp_ne_u32_e32 vcc, s65, v4
                                        ; implicit-def: $vgpr4
	s_and_saveexec_b64 s[20:21], vcc
	s_xor_b64 s[20:21], exec, s[20:21]
; %bb.1145:                             ;   in Loop: Header=BB12_659 Depth=1
	v_bfe_u32 v4, v6, 16, 1
	v_add3_u32 v4, v6, v4, s66
                                        ; implicit-def: $vgpr6
; %bb.1146:                             ;   in Loop: Header=BB12_659 Depth=1
	s_andn2_saveexec_b64 s[20:21], s[20:21]
; %bb.1147:                             ;   in Loop: Header=BB12_659 Depth=1
	v_or_b32_e32 v4, 0x10000, v6
	v_cmp_eq_u32_sdwa vcc, v6, v55 src0_sel:WORD_0 src1_sel:DWORD
	v_cndmask_b32_e32 v4, v4, v6, vcc
; %bb.1148:                             ;   in Loop: Header=BB12_659 Depth=1
	s_or_b64 exec, exec, s[20:21]
	v_add_f32_e32 v3, v3, v2
	v_and_b32_e32 v2, 0x7f800000, v3
	v_cmp_ne_u32_e32 vcc, s65, v2
                                        ; implicit-def: $vgpr2
	s_and_saveexec_b64 s[20:21], vcc
	s_xor_b64 s[20:21], exec, s[20:21]
; %bb.1149:                             ;   in Loop: Header=BB12_659 Depth=1
	v_bfe_u32 v2, v3, 16, 1
	v_add3_u32 v2, v3, v2, s66
                                        ; implicit-def: $vgpr3
; %bb.1150:                             ;   in Loop: Header=BB12_659 Depth=1
	s_andn2_saveexec_b64 s[20:21], s[20:21]
; %bb.1151:                             ;   in Loop: Header=BB12_659 Depth=1
	v_or_b32_e32 v2, 0x10000, v3
	v_cmp_eq_u32_sdwa vcc, v3, v55 src0_sel:WORD_0 src1_sel:DWORD
	v_cndmask_b32_e32 v2, v2, v3, vcc
; %bb.1152:                             ;   in Loop: Header=BB12_659 Depth=1
	s_or_b64 exec, exec, s[20:21]
	flat_store_short_d16_hi v[0:1], v10 glc slc
	flat_store_short_d16_hi v[0:1], v5 offset:128 glc slc
	flat_store_short_d16_hi v[0:1], v11 offset:256 glc slc
	;; [unrolled: 1-line block ×7, first 2 shown]
.LBB12_1153:                            ;   in Loop: Header=BB12_659 Depth=1
	s_or_b64 exec, exec, s[18:19]
	v_lshlrev_b32_e32 v0, 10, v16
	v_cmp_ne_u32_e32 vcc, v60, v0
	s_and_b64 s[18:19], exec, vcc
	v_accvgpr_read_b32 v10, a38
	v_mov_b32_e32 v16, 0x80
	v_mov_b32_e32 v28, v59
	s_mov_b64 exec, s[18:19]
	s_cbranch_execz .LBB12_1179
; %bb.1154:                             ;   in Loop: Header=BB12_659 Depth=1
	v_lshlrev_b32_e32 v1, 6, v12
	v_sub_u32_e32 v1, v15, v1
	v_ashrrev_i32_e32 v2, 31, v1
	v_lshrrev_b32_e32 v2, 26, v2
	v_add_u32_e32 v2, v1, v2
	v_and_b32_e32 v3, 0x7fffffc0, v2
	v_sub_u32_e32 v1, v1, v3
	v_lshlrev_b32_e32 v2, 1, v2
	v_and_b32_e32 v2, 0xffffff80, v2
	v_lshlrev_b32_e32 v1, 1, v1
	v_add3_u32 v0, v2, v1, v0
	v_add_u32_e32 v2, v0, v14
	v_accvgpr_read_b32 v6, a46
	v_ashrrev_i32_e32 v1, 31, v2
	v_accvgpr_read_b32 v7, a47
	v_add_co_u32_e32 v12, vcc, v2, v6
	v_sub_u32_e32 v4, v60, v0
	v_addc_co_u32_e32 v13, vcc, v1, v7, vcc
	v_cmp_lt_i32_e32 vcc, 1, v4
	s_mov_b64 s[18:19], 0
	s_and_saveexec_b64 s[44:45], vcc
	s_cbranch_execz .LBB12_1173
; %bb.1155:                             ;   in Loop: Header=BB12_659 Depth=1
	s_trap 2
	ds_read_b128 v[6:9], v0
	s_mov_b64 s[50:51], 0
	s_mov_b64 s[46:47], 0
                                        ; implicit-def: $sgpr48_sgpr49
	s_waitcnt lgkmcnt(0)
	v_add_co_u32_e32 v0, vcc, v6, v2
	v_addc_co_u32_e32 v11, vcc, v7, v1, vcc
	v_add_co_u32_e32 v2, vcc, v8, v2
	v_addc_co_u32_e32 v3, vcc, v9, v1, vcc
	s_branch .LBB12_1157
.LBB12_1156:                            ;   in Loop: Header=BB12_1157 Depth=2
	s_or_b64 exec, exec, s[18:19]
	v_lshrrev_b32_e32 v4, 16, v4
	buffer_store_short v4, off, s[0:3], s33 offset:144
	flat_store_short v[12:13], v4 glc slc
	v_add_co_u32_e32 v4, vcc, v0, v44
	v_addc_co_u32_e32 v5, vcc, v11, v57, vcc
	v_add_co_u32_e32 v6, vcc, v2, v44
	v_addc_co_u32_e32 v7, vcc, v3, v57, vcc
	v_cndmask_b32_e64 v9, v16, v56, s[50:51]
	v_cndmask_b32_e64 v8, 0, v10, s[50:51]
	v_add_co_u32_e32 v12, vcc, v12, v9
	v_cndmask_b32_e64 v0, v0, v4, s[50:51]
	v_cndmask_b32_e64 v4, 0, v41, s[50:51]
	v_addc_co_u32_e32 v13, vcc, v13, v8, vcc
	v_sub_u32_e32 v4, v1, v4
	v_cmp_gt_i32_e32 vcc, 2, v4
	s_or_b64 s[46:47], vcc, s[46:47]
	s_andn2_b64 s[18:19], s[48:49], exec
	s_and_b64 s[20:21], s[50:51], exec
	v_cndmask_b32_e64 v3, v3, v7, s[50:51]
	v_cndmask_b32_e64 v2, v2, v6, s[50:51]
	;; [unrolled: 1-line block ×3, first 2 shown]
	s_or_b64 s[48:49], s[18:19], s[20:21]
	s_andn2_b64 exec, exec, s[46:47]
	s_cbranch_execz .LBB12_1172
.LBB12_1157:                            ;   Parent Loop BB12_659 Depth=1
                                        ; =>  This Loop Header: Depth=2
                                        ;       Child Loop BB12_1158 Depth 3
                                        ;       Child Loop BB12_1167 Depth 3
	v_lshrrev_b32_e64 v1, 6, s33
	v_add_u32_e32 v1, 0x90, v1
	s_mov_b64 s[52:53], -1
	s_mov_b64 s[54:55], 0
.LBB12_1158:                            ;   Parent Loop BB12_659 Depth=1
                                        ;     Parent Loop BB12_1157 Depth=2
                                        ; =>    This Inner Loop Header: Depth=3
	s_cmp_eq_u32 s54, 1
	s_cselect_b64 s[18:19], -1, 0
	v_cndmask_b32_e64 v7, v11, v3, s[18:19]
	v_cndmask_b32_e64 v6, v0, v2, s[18:19]
	flat_load_ushort v5, v[6:7] glc slc
	v_add_co_u32_e32 v6, vcc, 0x80, v6
	s_cmp_eq_u32 s54, 0
	v_addc_co_u32_e32 v7, vcc, 0, v7, vcc
	s_cselect_b64 vcc, -1, 0
	s_and_b64 s[20:21], exec, s[52:53]
	s_mov_b64 s[54:55], 1
	v_cndmask_b32_e64 v2, v2, v6, s[18:19]
	s_mov_b64 s[52:53], 0
	v_cndmask_b32_e64 v3, v3, v7, s[18:19]
	v_cndmask_b32_e32 v11, v11, v7, vcc
	v_cndmask_b32_e32 v0, v0, v6, vcc
	s_mov_b64 vcc, s[20:21]
	s_waitcnt vmcnt(0) lgkmcnt(0)
	buffer_store_short v5, v1, s[0:3], 0 offen
	v_lshrrev_b32_e64 v1, 6, s33
	v_add_u32_e32 v1, 0xb0, v1
	s_cbranch_vccnz .LBB12_1158
; %bb.1159:                             ;   in Loop: Header=BB12_1157 Depth=2
	s_and_saveexec_b64 s[18:19], s[50:51]
	s_cbranch_execz .LBB12_1165
; %bb.1160:                             ;   in Loop: Header=BB12_1157 Depth=2
	buffer_load_ushort v1, off, s[0:3], s33 offset:142
	buffer_load_ushort v5, off, s[0:3], s33 offset:140
	s_waitcnt vmcnt(1)
	v_lshlrev_b32_e32 v6, 16, v1
	s_waitcnt vmcnt(0)
	v_lshlrev_b32_e32 v8, 16, v5
	v_pk_add_f32 v[14:15], v[6:7], v[8:9] op_sel_hi:[0,1]
	v_and_b32_e32 v1, 0x7f800000, v14
	v_cmp_ne_u32_e32 vcc, s65, v1
                                        ; implicit-def: $vgpr1
	s_and_saveexec_b64 s[20:21], vcc
	s_xor_b64 s[20:21], exec, s[20:21]
; %bb.1161:                             ;   in Loop: Header=BB12_1157 Depth=2
	v_bfe_u32 v1, v14, 16, 1
	v_add3_u32 v1, v14, v1, s66
                                        ; implicit-def: $vgpr14_vgpr15
; %bb.1162:                             ;   in Loop: Header=BB12_1157 Depth=2
	s_andn2_saveexec_b64 s[20:21], s[20:21]
; %bb.1163:                             ;   in Loop: Header=BB12_1157 Depth=2
	v_or_b32_e32 v1, 0x10000, v14
	v_cmp_eq_u32_sdwa vcc, v14, v55 src0_sel:WORD_0 src1_sel:DWORD
	v_cndmask_b32_e32 v1, v1, v14, vcc
; %bb.1164:                             ;   in Loop: Header=BB12_1157 Depth=2
	s_or_b64 exec, exec, s[20:21]
	v_lshrrev_b32_e32 v1, 16, v1
	flat_store_short v[12:13], v1 glc slc
	v_add_co_u32_e32 v12, vcc, v12, v56
	v_addc_co_u32_e32 v13, vcc, v13, v10, vcc
	buffer_store_short v1, off, s[0:3], s33 offset:140
.LBB12_1165:                            ;   in Loop: Header=BB12_1157 Depth=2
	s_or_b64 exec, exec, s[18:19]
	v_add_co_u32_e32 v0, vcc, v0, v44
	v_addc_co_u32_e32 v11, vcc, v11, v57, vcc
	v_add_co_u32_e32 v2, vcc, v2, v44
	v_sub_u32_e32 v1, v4, v41
	v_addc_co_u32_e32 v3, vcc, v3, v57, vcc
	v_cmp_lt_i32_e64 s[50:51], 1, v1
	s_and_saveexec_b64 s[52:53], s[50:51]
	s_cbranch_execz .LBB12_1168
; %bb.1166:                             ;   in Loop: Header=BB12_1157 Depth=2
	v_lshrrev_b32_e64 v4, 6, s33
	v_add_u32_e32 v4, 0x8c, v4
	s_mov_b64 s[56:57], 0
	s_mov_b64 s[54:55], -1
.LBB12_1167:                            ;   Parent Loop BB12_659 Depth=1
                                        ;     Parent Loop BB12_1157 Depth=2
                                        ; =>    This Inner Loop Header: Depth=3
	s_cmp_eq_u32 s56, 1
	s_cselect_b64 s[18:19], -1, 0
	v_cndmask_b32_e64 v7, v11, v3, s[18:19]
	v_cndmask_b32_e64 v6, v0, v2, s[18:19]
	flat_load_ushort v5, v[6:7] glc slc
	v_add_co_u32_e32 v6, vcc, 0x80, v6
	s_cmp_eq_u32 s56, 0
	v_addc_co_u32_e32 v7, vcc, 0, v7, vcc
	s_cselect_b64 vcc, -1, 0
	s_and_b64 s[20:21], exec, s[54:55]
	s_mov_b64 s[56:57], 1
	v_cndmask_b32_e64 v2, v2, v6, s[18:19]
	s_mov_b64 s[54:55], 0
	v_cndmask_b32_e32 v11, v11, v7, vcc
	v_cndmask_b32_e32 v0, v0, v6, vcc
	v_cndmask_b32_e64 v3, v3, v7, s[18:19]
	s_mov_b64 vcc, s[20:21]
	s_waitcnt vmcnt(0) lgkmcnt(0)
	buffer_store_short v5, v4, s[0:3], 0 offen
	v_lshrrev_b32_e64 v4, 6, s33
	v_add_u32_e32 v4, 0x8e, v4
	s_cbranch_vccnz .LBB12_1167
.LBB12_1168:                            ;   in Loop: Header=BB12_1157 Depth=2
	s_or_b64 exec, exec, s[52:53]
	buffer_load_ushort v4, off, s[0:3], s33 offset:176
	buffer_load_ushort v5, off, s[0:3], s33 offset:144
	s_waitcnt vmcnt(0)
	v_lshlrev_b32_e32 v4, 16, v4
	v_lshlrev_b32_e32 v6, 16, v5
	v_pk_add_f32 v[14:15], v[4:5], v[6:7] op_sel_hi:[0,1]
	v_and_b32_e32 v4, 0x7f800000, v14
	v_cmp_ne_u32_e32 vcc, s65, v4
                                        ; implicit-def: $vgpr4
	s_and_saveexec_b64 s[18:19], vcc
	s_xor_b64 s[18:19], exec, s[18:19]
; %bb.1169:                             ;   in Loop: Header=BB12_1157 Depth=2
	v_bfe_u32 v4, v14, 16, 1
	v_add3_u32 v4, v14, v4, s66
                                        ; implicit-def: $vgpr14_vgpr15
; %bb.1170:                             ;   in Loop: Header=BB12_1157 Depth=2
	s_andn2_saveexec_b64 s[18:19], s[18:19]
	s_cbranch_execz .LBB12_1156
; %bb.1171:                             ;   in Loop: Header=BB12_1157 Depth=2
	v_or_b32_e32 v4, 0x10000, v14
	v_cmp_eq_u32_sdwa vcc, v14, v55 src0_sel:WORD_0 src1_sel:DWORD
	v_cndmask_b32_e32 v4, v4, v14, vcc
	s_branch .LBB12_1156
.LBB12_1172:                            ;   in Loop: Header=BB12_659 Depth=1
	s_or_b64 exec, exec, s[46:47]
	s_and_b64 s[18:19], s[48:49], exec
.LBB12_1173:                            ;   in Loop: Header=BB12_659 Depth=1
	s_or_b64 exec, exec, s[44:45]
	s_and_b64 exec, exec, s[18:19]
	s_cbranch_execz .LBB12_1179
; %bb.1174:                             ;   in Loop: Header=BB12_659 Depth=1
	buffer_load_ushort v0, off, s[0:3], s33 offset:142
	buffer_load_ushort v1, off, s[0:3], s33 offset:140
	s_waitcnt vmcnt(0)
	v_lshlrev_b32_e32 v0, 16, v0
	v_lshlrev_b32_e32 v2, 16, v1
	v_pk_add_f32 v[0:1], v[0:1], v[2:3] op_sel_hi:[0,1]
	v_and_b32_e32 v1, 0x7f800000, v0
	v_cmp_ne_u32_e32 vcc, s65, v1
                                        ; implicit-def: $vgpr2
	s_and_saveexec_b64 s[18:19], vcc
	s_xor_b64 s[18:19], exec, s[18:19]
; %bb.1175:                             ;   in Loop: Header=BB12_659 Depth=1
	v_bfe_u32 v1, v0, 16, 1
	v_add3_u32 v2, v0, v1, s66
                                        ; implicit-def: $vgpr0_vgpr1
; %bb.1176:                             ;   in Loop: Header=BB12_659 Depth=1
	s_andn2_saveexec_b64 s[18:19], s[18:19]
; %bb.1177:                             ;   in Loop: Header=BB12_659 Depth=1
	v_or_b32_e32 v1, 0x10000, v0
	v_cmp_eq_u32_sdwa vcc, v0, v55 src0_sel:WORD_0 src1_sel:DWORD
	v_cndmask_b32_e32 v2, v1, v0, vcc
; %bb.1178:                             ;   in Loop: Header=BB12_659 Depth=1
	s_or_b64 exec, exec, s[18:19]
	flat_store_short_d16_hi v[12:13], v2 glc slc
.LBB12_1179:                            ;   in Loop: Header=BB12_659 Depth=1
	s_or_b64 exec, exec, s[22:23]
	v_cmp_ne_u32_e64 s[18:19], 0, v28
.LBB12_1180:                            ;   in Loop: Header=BB12_659 Depth=1
	s_and_saveexec_b64 s[20:21], s[10:11]
	s_cbranch_execz .LBB12_1199
; %bb.1181:                             ;   in Loop: Header=BB12_659 Depth=1
	s_and_saveexec_b64 s[22:23], s[34:35]
	s_xor_b64 s[22:23], exec, s[22:23]
	s_cbranch_execz .LBB12_1196
; %bb.1182:                             ;   in Loop: Header=BB12_659 Depth=1
	s_and_saveexec_b64 s[44:45], s[12:13]
	s_cbranch_execz .LBB12_1195
; %bb.1183:                             ;   in Loop: Header=BB12_659 Depth=1
	s_mov_b64 s[48:49], exec
	v_mbcnt_lo_u32_b32 v0, s48, 0
	v_mbcnt_hi_u32_b32 v0, s49, v0
	v_cmp_eq_u32_e32 vcc, 0, v0
	s_waitcnt vmcnt(0) lgkmcnt(0)
	buffer_wbinvl1_vol
	s_and_saveexec_b64 s[46:47], vcc
	s_cbranch_execz .LBB12_1185
; %bb.1184:                             ;   in Loop: Header=BB12_659 Depth=1
	s_bcnt1_i32_b64 vcc_lo, s[48:49]
	v_mov_b32_e32 v54, vcc_lo
	ds_add_u64 v0, v[54:55]
	s_trap 2
.LBB12_1185:                            ;   in Loop: Header=BB12_659 Depth=1
	s_or_b64 exec, exec, s[46:47]
	s_trap 2
	ds_read_b64 v[0:1], v0
	v_add_co_u32_e32 v26, vcc, v26, v42
	v_addc_co_u32_e32 v27, vcc, 0, v27, vcc
	s_waitcnt lgkmcnt(0)
	v_cmp_lt_u64_e32 vcc, v[0:1], v[26:27]
	s_and_saveexec_b64 s[46:47], vcc
	s_cbranch_execz .LBB12_1194
; %bb.1186:                             ;   in Loop: Header=BB12_659 Depth=1
	s_mov_b32 s58, 0
	s_mov_b64 s[48:49], 0
                                        ; implicit-def: $sgpr50_sgpr51
                                        ; implicit-def: $sgpr52_sgpr53
	s_branch .LBB12_1188
.LBB12_1187:                            ;   in Loop: Header=BB12_1188 Depth=2
	s_or_b64 exec, exec, s[56:57]
	s_and_b64 vcc, exec, vcc
	s_or_b64 s[48:49], vcc, s[48:49]
	s_andn2_b64 vcc, s[50:51], exec
	s_and_b64 s[50:51], s[52:53], exec
	s_or_b64 s[50:51], vcc, s[50:51]
	s_andn2_b64 exec, exec, s[48:49]
	s_cbranch_execz .LBB12_1192
.LBB12_1188:                            ;   Parent Loop BB12_659 Depth=1
                                        ; =>  This Inner Loop Header: Depth=2
	s_add_i32 s58, s58, 1
	s_cmpk_lg_i32 s58, 0x2710
	s_cselect_b64 s[54:55], -1, 0
	s_and_b64 vcc, exec, s[54:55]
                                        ; implicit-def: $sgpr56_sgpr57
	s_cbranch_vccnz .LBB12_1190
; %bb.1189:                             ;   in Loop: Header=BB12_1188 Depth=2
	s_trap 2
	ds_read_b64 v[0:1], v0
	s_andn2_b64 s[54:55], s[54:55], exec
	s_mov_b32 s58, 0
	s_mov_b64 s[56:57], -1
	s_waitcnt lgkmcnt(0)
	flat_load_dword v0, v[0:1] glc
	s_waitcnt vmcnt(0) lgkmcnt(0)
	buffer_invl2
	buffer_wbinvl1_vol
	v_cmp_eq_u32_e32 vcc, 0, v0
	s_and_b64 vcc, vcc, exec
	s_or_b64 s[54:55], s[54:55], vcc
.LBB12_1190:                            ;   in Loop: Header=BB12_1188 Depth=2
	s_andn2_b64 s[52:53], s[52:53], exec
	s_and_b64 s[56:57], s[56:57], exec
	s_mov_b64 vcc, -1
	s_or_b64 s[52:53], s[52:53], s[56:57]
	s_and_saveexec_b64 s[56:57], s[54:55]
	s_cbranch_execz .LBB12_1187
; %bb.1191:                             ;   in Loop: Header=BB12_1188 Depth=2
	s_sleep 1
	s_trap 2
	ds_read_b64 v[0:1], v0
	s_andn2_b64 s[52:53], s[52:53], exec
	s_waitcnt lgkmcnt(0)
	v_cmp_ge_u64_e32 vcc, v[0:1], v[26:27]
	s_orn2_b64 vcc, vcc, exec
	s_branch .LBB12_1187
.LBB12_1192:                            ;   in Loop: Header=BB12_659 Depth=1
	s_or_b64 exec, exec, s[48:49]
	s_and_saveexec_b64 vcc, s[50:51]
	s_xor_b64 vcc, exec, vcc
	s_cbranch_execz .LBB12_1194
; %bb.1193:                             ;   in Loop: Header=BB12_659 Depth=1
	v_mov_b32_e32 v0, 1
	ds_write_b32 v0, v0
	s_trap 2
.LBB12_1194:                            ;   in Loop: Header=BB12_659 Depth=1
	s_or_b64 exec, exec, s[46:47]
	;;#ASMSTART
	s_wakeup
	;;#ASMEND
.LBB12_1195:                            ;   in Loop: Header=BB12_659 Depth=1
	s_or_b64 exec, exec, s[44:45]
.LBB12_1196:                            ;   in Loop: Header=BB12_659 Depth=1
	s_andn2_saveexec_b64 s[22:23], s[22:23]
	s_cbranch_execz .LBB12_1198
; %bb.1197:                             ;   in Loop: Header=BB12_659 Depth=1
	s_waitcnt vmcnt(0) lgkmcnt(0)
	buffer_wbinvl1_vol
	s_barrier
.LBB12_1198:                            ;   in Loop: Header=BB12_659 Depth=1
	s_or_b64 exec, exec, s[22:23]
.LBB12_1199:                            ;   in Loop: Header=BB12_659 Depth=1
	s_or_b64 exec, exec, s[20:21]
	v_and_b32_e32 v0, 16, v62
	v_cmp_ne_u32_e32 vcc, 0, v0
	s_and_b64 s[20:21], vcc, s[18:19]
	s_and_saveexec_b64 s[18:19], s[20:21]
	s_cbranch_execz .LBB12_1201
; %bb.1200:                             ;   in Loop: Header=BB12_659 Depth=1
	s_waitcnt vmcnt(0) lgkmcnt(0)
	buffer_wbinvl1_vol
.LBB12_1201:                            ;   in Loop: Header=BB12_659 Depth=1
	s_or_b64 exec, exec, s[18:19]
	v_and_b32_e32 v0, 32, v62
	v_cmp_ne_u32_e32 vcc, 0, v0
	s_and_saveexec_b64 s[18:19], vcc
	s_cbranch_execz .LBB12_1203
; %bb.1202:                             ;   in Loop: Header=BB12_659 Depth=1
	v_add_co_u32_e32 v50, vcc, 1, v50
	v_accvgpr_read_b32 v0, a16
	v_addc_co_u32_e32 v51, vcc, 0, v51, vcc
	v_accvgpr_read_b32 v1, a17
	flat_store_dwordx2 v[0:1], v[50:51]
.LBB12_1203:                            ;   in Loop: Header=BB12_659 Depth=1
	s_or_b64 exec, exec, s[18:19]
	v_mov_b32_e32 v10, v22
.LBB12_1204:                            ;   in Loop: Header=BB12_659 Depth=1
	s_or_b64 exec, exec, s[42:43]
	s_and_saveexec_b64 s[20:21], s[40:41]
	s_cbranch_execz .LBB12_658
; %bb.1205:                             ;   in Loop: Header=BB12_659 Depth=1
	v_and_b32_e32 v0, 4, v62
	v_cmp_ne_u32_e32 vcc, 0, v0
	s_mov_b64 s[22:23], -1
	s_and_saveexec_b64 s[18:19], vcc
	s_cbranch_execnz .LBB12_1208
; %bb.1206:                             ;   in Loop: Header=BB12_659 Depth=1
	s_or_b64 exec, exec, s[18:19]
	s_xor_b64 s[18:19], s[22:23], -1
	s_and_saveexec_b64 s[22:23], s[18:19]
	s_cbranch_execnz .LBB12_1219
.LBB12_1207:                            ;   in Loop: Header=BB12_659 Depth=1
	s_or_b64 exec, exec, s[22:23]
	s_and_saveexec_b64 s[18:19], s[10:11]
	s_cbranch_execnz .LBB12_1228
	s_branch .LBB12_1246
.LBB12_1208:                            ;   in Loop: Header=BB12_659 Depth=1
	v_add_co_u32_e32 v0, vcc, 1, v50
	v_addc_co_u32_e32 v1, vcc, 0, v51, vcc
	v_cmp_lt_u64_e32 vcc, v[46:47], v[0:1]
	v_mov_b32_e32 v2, 1
	s_and_saveexec_b64 s[22:23], vcc
	s_cbranch_execz .LBB12_1218
; %bb.1209:                             ;   in Loop: Header=BB12_659 Depth=1
	s_mov_b64 s[40:41], 0
	v_mov_b32_e32 v2, 0
                                        ; implicit-def: $sgpr42_sgpr43
	s_branch .LBB12_1213
.LBB12_1210:                            ;   in Loop: Header=BB12_1213 Depth=2
	s_or_b64 exec, exec, s[50:51]
	v_mov_b32_e32 v3, 0
	s_orn2_b64 s[48:49], s[48:49], exec
.LBB12_1211:                            ;   in Loop: Header=BB12_1213 Depth=2
	s_or_b64 exec, exec, s[46:47]
	s_andn2_b64 vcc, s[42:43], exec
	s_and_b64 s[42:43], s[48:49], exec
	s_or_b64 s[42:43], vcc, s[42:43]
	v_mov_b32_e32 v2, v3
.LBB12_1212:                            ;   in Loop: Header=BB12_1213 Depth=2
	s_or_b64 exec, exec, s[44:45]
	s_waitcnt vmcnt(0) lgkmcnt(0)
	v_cmp_ge_u64_e32 vcc, v[46:47], v[0:1]
	s_xor_b64 s[44:45], s[42:43], -1
	s_or_b64 vcc, s[44:45], vcc
	s_and_b64 vcc, exec, vcc
	s_or_b64 s[40:41], vcc, s[40:41]
	s_andn2_b64 exec, exec, s[40:41]
	s_cbranch_execz .LBB12_1217
.LBB12_1213:                            ;   Parent Loop BB12_659 Depth=1
                                        ; =>  This Inner Loop Header: Depth=2
	v_accvgpr_read_b32 v4, a16
	v_accvgpr_read_b32 v5, a17
	s_sleep 1
	flat_load_dwordx2 v[46:47], v[4:5] glc
	v_and_b32_e32 v3, 64, v62
	v_cmp_eq_u32_e32 vcc, 0, v3
	s_andn2_b64 s[42:43], s[42:43], exec
	s_and_saveexec_b64 s[44:45], vcc
	s_cbranch_execz .LBB12_1212
; %bb.1214:                             ;   in Loop: Header=BB12_1213 Depth=2
	v_add_u32_e32 v3, 1, v2
	v_cmp_lt_i32_e32 vcc, s63, v2
	s_mov_b64 s[48:49], -1
	s_and_saveexec_b64 s[46:47], vcc
	s_cbranch_execz .LBB12_1211
; %bb.1215:                             ;   in Loop: Header=BB12_1213 Depth=2
	s_trap 2
	ds_read_b64 v[2:3], v0
	s_waitcnt vmcnt(0) lgkmcnt(0)
	flat_load_dword v2, v[2:3] glc
	s_waitcnt vmcnt(0) lgkmcnt(0)
	buffer_invl2
	buffer_wbinvl1_vol
	v_cmp_ne_u32_e32 vcc, 0, v2
	s_and_saveexec_b64 s[50:51], vcc
	s_cbranch_execz .LBB12_1210
; %bb.1216:                             ;   in Loop: Header=BB12_1213 Depth=2
	v_or_b32_e32 v62, 64, v62
	s_xor_b64 s[48:49], exec, -1
	ds_write_b32 v0, v2
	s_trap 2
	s_branch .LBB12_1210
.LBB12_1217:                            ;   in Loop: Header=BB12_659 Depth=1
	s_or_b64 exec, exec, s[40:41]
	v_and_b32_e32 v2, 4, v62
.LBB12_1218:                            ;   in Loop: Header=BB12_659 Depth=1
	s_or_b64 exec, exec, s[22:23]
	v_cmp_eq_u32_e32 vcc, 0, v2
	s_orn2_b64 s[22:23], vcc, exec
	;;#ASMSTART
	s_wakeup
	;;#ASMEND
	s_or_b64 exec, exec, s[18:19]
	s_xor_b64 s[18:19], s[22:23], -1
	s_and_saveexec_b64 s[22:23], s[18:19]
	s_cbranch_execz .LBB12_1207
.LBB12_1219:                            ;   in Loop: Header=BB12_659 Depth=1
	v_and_b32_e32 v0, 0x100, v62
	v_cmp_ne_u32_e32 vcc, 0, v0
	v_and_b32_e32 v4, 7, v50
	s_mov_b64 s[18:19], -1
                                        ; implicit-def: $vgpr0_vgpr1
	s_and_saveexec_b64 s[40:41], vcc
	s_cbranch_execz .LBB12_1223
; %bb.1220:                             ;   in Loop: Header=BB12_659 Depth=1
	v_mad_u64_u32 v[2:3], s[18:19], v4, 24, v[48:49]
	flat_load_dword v0, v[2:3]
	s_waitcnt vmcnt(0) lgkmcnt(0)
	v_cmp_ne_u32_e32 vcc, 1, v0
	v_cmp_eq_u32_e64 s[18:19], 1, v0
                                        ; implicit-def: $vgpr0_vgpr1
	s_and_saveexec_b64 s[42:43], s[18:19]
	s_cbranch_execz .LBB12_1222
; %bb.1221:                             ;   in Loop: Header=BB12_659 Depth=1
	flat_load_dword v0, v[2:3] offset:4 glc
	s_waitcnt vmcnt(0) lgkmcnt(0)
	v_ashrrev_i32_e32 v1, 31, v0
	v_lshrrev_b64 v[0:1], 1, v[0:1]
.LBB12_1222:                            ;   in Loop: Header=BB12_659 Depth=1
	s_or_b64 exec, exec, s[42:43]
	s_orn2_b64 s[18:19], vcc, exec
.LBB12_1223:                            ;   in Loop: Header=BB12_659 Depth=1
	s_or_b64 exec, exec, s[40:41]
	s_and_saveexec_b64 vcc, s[18:19]
; %bb.1224:                             ;   in Loop: Header=BB12_659 Depth=1
	v_accvgpr_read_b32 v0, a18
	v_mad_i64_i32 v[0:1], s[18:19], v4, v0, 0
; %bb.1225:                             ;   in Loop: Header=BB12_659 Depth=1
	s_or_b64 exec, exec, vcc
	v_lshlrev_b64 v[0:1], 1, v[0:1]
	v_accvgpr_read_b32 v2, a20
	v_accvgpr_read_b32 v3, a21
	v_add_co_u32_e32 v0, vcc, v2, v0
	v_addc_co_u32_e32 v1, vcc, v3, v1, vcc
	ds_write_b64 v0, v[0:1] offset:728
	v_and_b32_e32 v0, 0x2000, v62
	v_cmp_ne_u32_e32 vcc, 0, v0
	s_and_saveexec_b64 s[18:19], vcc
	s_cbranch_execz .LBB12_1227
; %bb.1226:                             ;   in Loop: Header=BB12_659 Depth=1
	ds_read_b64 v[0:1], v0 offset:584
	s_waitcnt lgkmcnt(0)
	v_add_co_u32_e32 v0, vcc, 1, v0
	v_addc_co_u32_e32 v1, vcc, 0, v1, vcc
	ds_write_b64 v0, v[0:1] offset:584
.LBB12_1227:                            ;   in Loop: Header=BB12_659 Depth=1
	s_or_b64 exec, exec, s[18:19]
	v_add_co_u32_e32 v50, vcc, 1, v50
	v_addc_co_u32_e32 v51, vcc, 0, v51, vcc
	s_or_b64 exec, exec, s[22:23]
	s_and_saveexec_b64 s[18:19], s[10:11]
	s_cbranch_execz .LBB12_1246
.LBB12_1228:                            ;   in Loop: Header=BB12_659 Depth=1
	s_and_saveexec_b64 s[22:23], s[34:35]
	s_xor_b64 s[22:23], exec, s[22:23]
	s_cbranch_execz .LBB12_1243
; %bb.1229:                             ;   in Loop: Header=BB12_659 Depth=1
	s_and_saveexec_b64 s[40:41], s[12:13]
	s_cbranch_execz .LBB12_1242
; %bb.1230:                             ;   in Loop: Header=BB12_659 Depth=1
	s_mov_b64 s[44:45], exec
	v_mbcnt_lo_u32_b32 v0, s44, 0
	v_mbcnt_hi_u32_b32 v0, s45, v0
	v_cmp_eq_u32_e32 vcc, 0, v0
	s_waitcnt vmcnt(0) lgkmcnt(0)
	buffer_wbinvl1_vol
	s_and_saveexec_b64 s[42:43], vcc
	s_cbranch_execz .LBB12_1232
; %bb.1231:                             ;   in Loop: Header=BB12_659 Depth=1
	s_bcnt1_i32_b64 vcc_lo, s[44:45]
	v_mov_b32_e32 v54, vcc_lo
	ds_add_u64 v0, v[54:55]
	s_trap 2
.LBB12_1232:                            ;   in Loop: Header=BB12_659 Depth=1
	s_or_b64 exec, exec, s[42:43]
	s_trap 2
	ds_read_b64 v[0:1], v0
	v_add_co_u32_e32 v26, vcc, v26, v42
	v_addc_co_u32_e32 v27, vcc, 0, v27, vcc
	s_waitcnt lgkmcnt(0)
	v_cmp_lt_u64_e32 vcc, v[0:1], v[26:27]
	s_and_saveexec_b64 s[42:43], vcc
	s_cbranch_execz .LBB12_1241
; %bb.1233:                             ;   in Loop: Header=BB12_659 Depth=1
	s_mov_b32 s54, 0
	s_mov_b64 s[44:45], 0
                                        ; implicit-def: $sgpr46_sgpr47
                                        ; implicit-def: $sgpr48_sgpr49
	s_branch .LBB12_1235
.LBB12_1234:                            ;   in Loop: Header=BB12_1235 Depth=2
	s_or_b64 exec, exec, s[52:53]
	s_and_b64 vcc, exec, vcc
	s_or_b64 s[44:45], vcc, s[44:45]
	s_andn2_b64 vcc, s[46:47], exec
	s_and_b64 s[46:47], s[48:49], exec
	s_or_b64 s[46:47], vcc, s[46:47]
	s_andn2_b64 exec, exec, s[44:45]
	s_cbranch_execz .LBB12_1239
.LBB12_1235:                            ;   Parent Loop BB12_659 Depth=1
                                        ; =>  This Inner Loop Header: Depth=2
	s_add_i32 s54, s54, 1
	s_cmpk_lg_i32 s54, 0x2710
	s_cselect_b64 s[50:51], -1, 0
	s_and_b64 vcc, exec, s[50:51]
                                        ; implicit-def: $sgpr52_sgpr53
	s_cbranch_vccnz .LBB12_1237
; %bb.1236:                             ;   in Loop: Header=BB12_1235 Depth=2
	s_trap 2
	ds_read_b64 v[0:1], v0
	s_andn2_b64 s[50:51], s[50:51], exec
	s_mov_b32 s54, 0
	s_mov_b64 s[52:53], -1
	s_waitcnt lgkmcnt(0)
	flat_load_dword v0, v[0:1] glc
	s_waitcnt vmcnt(0) lgkmcnt(0)
	buffer_invl2
	buffer_wbinvl1_vol
	v_cmp_eq_u32_e32 vcc, 0, v0
	s_and_b64 vcc, vcc, exec
	s_or_b64 s[50:51], s[50:51], vcc
.LBB12_1237:                            ;   in Loop: Header=BB12_1235 Depth=2
	s_andn2_b64 s[48:49], s[48:49], exec
	s_and_b64 s[52:53], s[52:53], exec
	s_mov_b64 vcc, -1
	s_or_b64 s[48:49], s[48:49], s[52:53]
	s_and_saveexec_b64 s[52:53], s[50:51]
	s_cbranch_execz .LBB12_1234
; %bb.1238:                             ;   in Loop: Header=BB12_1235 Depth=2
	s_sleep 1
	s_trap 2
	ds_read_b64 v[0:1], v0
	s_andn2_b64 s[48:49], s[48:49], exec
	s_waitcnt lgkmcnt(0)
	v_cmp_ge_u64_e32 vcc, v[0:1], v[26:27]
	s_orn2_b64 vcc, vcc, exec
	s_branch .LBB12_1234
.LBB12_1239:                            ;   in Loop: Header=BB12_659 Depth=1
	s_or_b64 exec, exec, s[44:45]
	s_and_saveexec_b64 vcc, s[46:47]
	s_xor_b64 vcc, exec, vcc
	s_cbranch_execz .LBB12_1241
; %bb.1240:                             ;   in Loop: Header=BB12_659 Depth=1
	v_mov_b32_e32 v0, 1
	ds_write_b32 v0, v0
	s_trap 2
.LBB12_1241:                            ;   in Loop: Header=BB12_659 Depth=1
	s_or_b64 exec, exec, s[42:43]
	;;#ASMSTART
	s_wakeup
	;;#ASMEND
.LBB12_1242:                            ;   in Loop: Header=BB12_659 Depth=1
	s_or_b64 exec, exec, s[40:41]
.LBB12_1243:                            ;   in Loop: Header=BB12_659 Depth=1
	s_andn2_saveexec_b64 s[22:23], s[22:23]
	s_cbranch_execz .LBB12_1245
; %bb.1244:                             ;   in Loop: Header=BB12_659 Depth=1
	s_waitcnt vmcnt(0) lgkmcnt(0)
	buffer_wbinvl1_vol
	s_barrier
.LBB12_1245:                            ;   in Loop: Header=BB12_659 Depth=1
	s_or_b64 exec, exec, s[22:23]
.LBB12_1246:                            ;   in Loop: Header=BB12_659 Depth=1
	s_or_b64 exec, exec, s[18:19]
	s_trap 2
	ds_read_b32 v0, v0
	v_accvgpr_read_b32 v2, a42
	v_sub_u32_e32 v1, v2, v10
	v_min_i32_e32 v1, v22, v1
	v_cmp_lt_i32_e32 vcc, 0, v1
	s_waitcnt lgkmcnt(0)
	v_readfirstlane_b32 s18, v0
	s_cmp_eq_u32 s18, 0
	s_cselect_b64 s[18:19], -1, 0
	v_and_b32_e32 v0, 16, v62
	s_and_b64 s[18:19], vcc, s[18:19]
	v_cmp_ne_u32_e32 vcc, 0, v0
	s_and_b64 s[22:23], vcc, s[18:19]
	s_and_saveexec_b64 s[18:19], s[22:23]
	s_cbranch_execz .LBB12_1248
; %bb.1247:                             ;   in Loop: Header=BB12_659 Depth=1
	s_waitcnt vmcnt(0)
	buffer_wbinvl1_vol
.LBB12_1248:                            ;   in Loop: Header=BB12_659 Depth=1
	s_or_b64 exec, exec, s[18:19]
	v_and_b32_e32 v0, 32, v62
	v_cmp_ne_u32_e32 vcc, 0, v0
	s_and_saveexec_b64 s[18:19], vcc
	s_cbranch_execz .LBB12_657
; %bb.1249:                             ;   in Loop: Header=BB12_659 Depth=1
	v_add_co_u32_e32 v50, vcc, 1, v50
	v_accvgpr_read_b32 v0, a16
	v_addc_co_u32_e32 v51, vcc, 0, v51, vcc
	v_accvgpr_read_b32 v1, a17
	flat_store_dwordx2 v[0:1], v[50:51]
	s_branch .LBB12_657
.LBB12_1250:
	s_or_b64 exec, exec, s[36:37]
	v_accvgpr_read_b32 v23, a3
	v_accvgpr_read_b32 v22, a2
.LBB12_1251:
	s_or_b64 exec, exec, s[26:27]
.LBB12_1252:
	s_or_b64 exec, exec, s[24:25]
                                        ; implicit-def: $agpr6_agpr7
                                        ; implicit-def: $vgpr24_vgpr25
                                        ; implicit-def: $agpr26_agpr27
                                        ; implicit-def: $agpr18
                                        ; implicit-def: $vgpr46_vgpr47
                                        ; implicit-def: $agpr20_agpr21
                                        ; implicit-def: $agpr16_agpr17
                                        ; implicit-def: $vgpr0
                                        ; implicit-def: $vgpr1
                                        ; implicit-def: $vgpr52_vgpr53
.LBB12_1253:
	s_andn2_saveexec_b64 s[22:23], s[30:31]
	s_cbranch_execz .LBB12_1455
; %bb.1254:
	s_mov_b64 s[26:27], 0
	v_cmp_ne_u64_e32 vcc, 0, v[24:25]
	v_pk_mov_b32 v[26:27], 0, 0
	s_and_saveexec_b64 s[24:25], vcc
	s_cbranch_execz .LBB12_1454
; %bb.1255:
	v_ashrrev_i32_e32 v3, 31, v0
	v_lshrrev_b32_e32 v3, 26, v3
	v_add_u32_e32 v3, v0, v3
	v_and_b32_e32 v4, 0xffffffc0, v3
	s_lshr_b32 s6, s64, 27
	v_sub_u32_e32 v8, v0, v4
	s_add_i32 s64, s64, s6
	v_cmp_ge_i32_e64 s[6:7], v0, v29
	v_cmp_lt_i32_e64 s[16:17], v8, v1
	v_ashrrev_i32_e32 v1, 6, v3
	v_lshlrev_b32_e32 v0, 4, v8
	v_and_b32_e32 v2, 63, v31
	v_lshl_add_u32 v0, v1, 12, v0
	v_cmp_eq_u32_e64 s[12:13], 0, v2
	v_lshrrev_b32_e32 v2, 6, v29
	v_accvgpr_write_b32 a19, v1
	v_accvgpr_write_b32 a24, v0
	v_ashrrev_i32_e32 v1, 31, v0
	v_mov_b32_e32 v0, 0xfffff000
	v_lshl_add_u32 v0, v2, 12, v0
	v_accvgpr_write_b32 a25, v1
	v_ashrrev_i32_e32 v1, 31, v0
	s_movk_i32 s59, 0x1000
	v_add_co_u32_e64 v3, s[18:19], s59, v0
	v_accvgpr_write_b32 a29, v1
	v_accvgpr_write_b32 a28, v0
	v_addc_co_u32_e64 v4, s[18:19], 0, v1, s[18:19]
	v_lshlrev_b32_e32 v0, 10, v2
	v_accvgpr_write_b32 a30, v0
	v_add_u32_e32 v0, 0xfffffc00, v0
	s_movk_i32 s18, 0x400
	v_ashrrev_i32_e32 v1, 31, v0
	v_accvgpr_write_b32 a32, v0
	v_add_co_u32_e64 v0, s[18:19], s18, v0
	v_accvgpr_write_b32 a33, v0
	v_addc_co_u32_e64 v0, s[18:19], 0, v1, s[18:19]
	v_accvgpr_write_b32 a31, v1
	v_accvgpr_write_b32 a34, v0
	s_waitcnt vmcnt(0) lgkmcnt(0)
	v_accvgpr_read_b32 v0, a26
	v_accvgpr_read_b32 v1, a27
	v_cmp_ne_u64_e64 s[18:19], 0, v[0:1]
	v_mov_b32_e32 v0, 0xfffff800
	v_lshl_add_u32 v0, v2, 11, v0
	v_ashrrev_i32_e32 v1, 31, v0
	s_movk_i32 s60, 0x800
	v_add_co_u32_e64 v59, s[20:21], s60, v0
	v_accvgpr_write_b32 a37, v1
	v_accvgpr_write_b32 a36, v0
	v_addc_co_u32_e64 v44, s[20:21], 0, v1, s[20:21]
	v_lshlrev_b32_e32 v0, 7, v2
	v_add_u32_e32 v6, 0xffffff80, v0
	s_movk_i32 s20, 0x80
	v_ashrrev_i32_e32 v7, 31, v6
	v_add_co_u32_e64 v1, s[20:21], s20, v6
	v_pk_mov_b32 v[60:61], 0, 0
	v_accvgpr_write_b32 a10, v48
	v_accvgpr_write_b32 a4, v22
	v_cmp_eq_u32_e32 vcc, 64, v29
	v_accvgpr_write_b32 a39, v7
	v_addc_co_u32_e64 v42, s[20:21], 0, v7, s[20:21]
	v_accvgpr_write_b32 a14, v60
	v_accvgpr_write_b32 a11, v49
	;; [unrolled: 1-line block ×5, first 2 shown]
	s_ashr_i32 s58, s64, 5
	v_cmp_ne_u32_e64 s[10:11], 64, v29
	v_accvgpr_write_b32 a1, v30
	v_cmp_ne_u32_sdwa s[30:31], v30, v29 src0_sel:WORD_0 src1_sel:DWORD
	v_accvgpr_write_b32 a0, v31
	v_mov_b32_e32 v9, v29
	v_mov_b32_e32 v43, 0
	v_cmp_gt_i32_e64 s[14:15], 1, v8
	v_accvgpr_write_b32 a38, v6
	s_movk_i32 s61, 0x270e
	s_xor_b64 s[34:35], vcc, -1
	v_accvgpr_write_b32 a15, v61
	v_accvgpr_write_b32 a35, v0
	;; [unrolled: 1-line block ×4, first 2 shown]
	s_trap 2
	s_branch .LBB12_1259
.LBB12_1256:                            ;   in Loop: Header=BB12_1259 Depth=1
	s_or_b64 exec, exec, vcc
	v_accvgpr_read_b32 v10, a10
	v_accvgpr_read_b32 v12, a12
	;; [unrolled: 1-line block ×3, first 2 shown]
	v_add_co_u32_e32 v12, vcc, 1, v12
	v_accvgpr_read_b32 v11, a11
	v_addc_co_u32_e32 v13, vcc, 0, v13, vcc
	v_accvgpr_write_b32 a10, v10
	v_accvgpr_read_b32 v0, a16
	v_accvgpr_write_b32 a11, v11
	v_accvgpr_write_b32 a12, v12
	;; [unrolled: 1-line block ×3, first 2 shown]
	v_accvgpr_read_b32 v1, a17
	flat_store_dwordx2 v[0:1], v[12:13]
.LBB12_1257:                            ;   in Loop: Header=BB12_1259 Depth=1
	s_or_b64 exec, exec, s[20:21]
.LBB12_1258:                            ;   in Loop: Header=BB12_1259 Depth=1
	s_or_b64 exec, exec, s[38:39]
	v_accvgpr_read_b32 v53, a23
	v_accvgpr_read_b32 v52, a22
	v_add_co_u32_e32 v60, vcc, v60, v52
	v_accvgpr_read_b32 v25, a3
	v_addc_co_u32_e32 v61, vcc, 0, v61, vcc
	v_accvgpr_read_b32 v24, a2
	v_cmp_ge_u64_e32 vcc, v[60:61], v[24:25]
	s_or_b64 s[26:27], vcc, s[26:27]
	s_andn2_b64 exec, exec, s[26:27]
	s_cbranch_execz .LBB12_1453
.LBB12_1259:                            ; =>This Loop Header: Depth=1
                                        ;     Child Loop BB12_1268 Depth 2
                                        ;     Child Loop BB12_1292 Depth 2
	;; [unrolled: 1-line block ×10, first 2 shown]
	v_sub_co_u32_e32 v0, vcc, v24, v60
	v_subb_co_u32_e32 v1, vcc, v25, v61, vcc
	v_cmp_lt_u64_e32 vcc, v[52:53], v[0:1]
	v_cndmask_b32_e64 v57, v1, 0, vcc
	v_cndmask_b32_e32 v56, v0, v52, vcc
	v_add_u32_e32 v0, 15, v56
	v_cmp_eq_u64_e32 vcc, 0, v[56:57]
	v_accvgpr_write_b32 a2, v24
	v_accvgpr_write_b32 a22, v52
	v_and_b32_e32 v0, 0x3ffffff0, v0
	s_or_b64 s[36:37], s[6:7], vcc
	v_accvgpr_write_b32 a3, v25
	v_accvgpr_write_b32 a23, v53
	v_max_i32_e32 v5, s58, v0
	s_xor_b64 s[20:21], s[36:37], -1
	v_mov_b32_e32 v0, 0
	s_and_saveexec_b64 s[38:39], s[20:21]
	s_cbranch_execz .LBB12_1406
; %bb.1260:                             ;   in Loop: Header=BB12_1259 Depth=1
	s_and_saveexec_b64 s[20:21], s[4:5]
	s_cbranch_execz .LBB12_1262
; %bb.1261:                             ;   in Loop: Header=BB12_1259 Depth=1
	s_trap 2
	ds_read_b64 v[0:1], v0
	v_accvgpr_read_b32 v6, a6
	v_accvgpr_read_b32 v7, a7
	v_lshlrev_b64 v[6:7], 1, v[6:7]
	v_mov_b32_e32 v42, v43
	s_waitcnt lgkmcnt(0)
	v_add_co_u32_e32 v6, vcc, v0, v6
	v_addc_co_u32_e32 v7, vcc, v1, v7, vcc
	v_lshlrev_b64 v[0:1], 1, v[60:61]
	v_add_co_u32_e32 v0, vcc, v6, v0
	v_addc_co_u32_e32 v1, vcc, v7, v1, vcc
	ds_write_b64 v0, v[42:43]
	v_accvgpr_read_b32 v42, a41
	ds_write_b64 v0, v[0:1]
.LBB12_1262:                            ;   in Loop: Header=BB12_1259 Depth=1
	s_or_b64 exec, exec, s[20:21]
	v_and_b32_e32 v0, 8, v62
	v_cmp_ne_u32_e32 vcc, 0, v0
	s_mov_b64 s[40:41], -1
	s_and_saveexec_b64 s[20:21], vcc
	s_cbranch_execz .LBB12_1274
; %bb.1263:                             ;   in Loop: Header=BB12_1259 Depth=1
	v_add_co_u32_e32 v0, vcc, 8, v46
	v_accvgpr_read_b32 v10, a10
	v_addc_co_u32_e32 v1, vcc, 0, v47, vcc
	v_accvgpr_read_b32 v12, a12
	v_accvgpr_read_b32 v11, a11
	;; [unrolled: 1-line block ×3, first 2 shown]
	v_add_co_u32_e32 v10, vcc, 1, v12
	v_addc_co_u32_e32 v11, vcc, 0, v13, vcc
	v_cmp_lt_u64_e32 vcc, v[0:1], v[10:11]
	v_mov_b32_e32 v0, 1
	s_and_saveexec_b64 s[40:41], vcc
	s_cbranch_execz .LBB12_1273
; %bb.1264:                             ;   in Loop: Header=BB12_1259 Depth=1
	s_mov_b64 s[42:43], 0
	v_mov_b32_e32 v0, 0
                                        ; implicit-def: $sgpr44_sgpr45
	s_branch .LBB12_1268
.LBB12_1265:                            ;   in Loop: Header=BB12_1268 Depth=2
	s_or_b64 exec, exec, s[52:53]
	v_mov_b32_e32 v1, 0
	s_orn2_b64 s[50:51], s[50:51], exec
.LBB12_1266:                            ;   in Loop: Header=BB12_1268 Depth=2
	s_or_b64 exec, exec, s[48:49]
	s_andn2_b64 vcc, s[44:45], exec
	s_and_b64 s[44:45], s[50:51], exec
	s_or_b64 s[44:45], vcc, s[44:45]
	v_mov_b32_e32 v0, v1
.LBB12_1267:                            ;   in Loop: Header=BB12_1268 Depth=2
	s_or_b64 exec, exec, s[46:47]
	s_waitcnt vmcnt(0) lgkmcnt(0)
	v_add_co_u32_e32 v6, vcc, 8, v46
	v_addc_co_u32_e32 v7, vcc, 0, v47, vcc
	v_cmp_ge_u64_e32 vcc, v[6:7], v[10:11]
	s_xor_b64 s[46:47], s[44:45], -1
	s_or_b64 vcc, s[46:47], vcc
	s_and_b64 vcc, exec, vcc
	s_or_b64 s[42:43], vcc, s[42:43]
	s_andn2_b64 exec, exec, s[42:43]
	s_cbranch_execz .LBB12_1272
.LBB12_1268:                            ;   Parent Loop BB12_1259 Depth=1
                                        ; =>  This Inner Loop Header: Depth=2
	v_accvgpr_read_b32 v6, a16
	v_accvgpr_read_b32 v7, a17
	s_sleep 1
	flat_load_dwordx2 v[46:47], v[6:7] glc
	v_and_b32_e32 v1, 64, v62
	v_cmp_eq_u32_e32 vcc, 0, v1
	s_andn2_b64 s[44:45], s[44:45], exec
	s_and_saveexec_b64 s[46:47], vcc
	s_cbranch_execz .LBB12_1267
; %bb.1269:                             ;   in Loop: Header=BB12_1268 Depth=2
	v_add_u32_e32 v1, 1, v0
	v_cmp_lt_i32_e32 vcc, s61, v0
	s_mov_b64 s[50:51], -1
	s_and_saveexec_b64 s[48:49], vcc
	s_cbranch_execz .LBB12_1266
; %bb.1270:                             ;   in Loop: Header=BB12_1268 Depth=2
	s_trap 2
	ds_read_b64 v[0:1], v0
	s_waitcnt vmcnt(0) lgkmcnt(0)
	flat_load_dword v0, v[0:1] glc
	s_waitcnt vmcnt(0) lgkmcnt(0)
	buffer_invl2
	buffer_wbinvl1_vol
	v_cmp_ne_u32_e32 vcc, 0, v0
	s_and_saveexec_b64 s[52:53], vcc
	s_cbranch_execz .LBB12_1265
; %bb.1271:                             ;   in Loop: Header=BB12_1268 Depth=2
	v_or_b32_e32 v62, 64, v62
	s_xor_b64 s[50:51], exec, -1
	ds_write_b32 v0, v0
	s_trap 2
	s_branch .LBB12_1265
.LBB12_1272:                            ;   in Loop: Header=BB12_1259 Depth=1
	s_or_b64 exec, exec, s[42:43]
	v_and_b32_e32 v0, 8, v62
.LBB12_1273:                            ;   in Loop: Header=BB12_1259 Depth=1
	s_or_b64 exec, exec, s[40:41]
	v_cmp_eq_u32_e32 vcc, 0, v0
	s_orn2_b64 s[40:41], vcc, exec
	;;#ASMSTART
	s_wakeup
	;;#ASMEND
.LBB12_1274:                            ;   in Loop: Header=BB12_1259 Depth=1
	s_or_b64 exec, exec, s[20:21]
	s_xor_b64 s[20:21], s[40:41], -1
	v_min_u32_e32 v5, v5, v56
	s_and_saveexec_b64 s[40:41], s[20:21]
	s_cbranch_execz .LBB12_1284
; %bb.1275:                             ;   in Loop: Header=BB12_1259 Depth=1
	v_accvgpr_read_b32 v10, a10
	v_and_b32_e32 v0, 0x100, v62
	v_accvgpr_read_b32 v12, a12
	v_cmp_ne_u32_e32 vcc, 0, v0
	v_accvgpr_read_b32 v11, a11
	v_and_b32_e32 v0, 7, v12
	s_mov_b64 s[20:21], -1
	v_accvgpr_read_b32 v13, a13
                                        ; implicit-def: $vgpr10_vgpr11
	s_and_saveexec_b64 s[42:43], vcc
	s_cbranch_execz .LBB12_1279
; %bb.1276:                             ;   in Loop: Header=BB12_1259 Depth=1
	v_accvgpr_read_b32 v10, a10
	v_accvgpr_read_b32 v11, a11
	;; [unrolled: 1-line block ×4, first 2 shown]
	v_mad_u64_u32 v[12:13], s[20:21], v0, 24, v[10:11]
	flat_load_dword v1, v[12:13]
	v_lshlrev_b32_e32 v42, 1, v5
	flat_store_dwordx2 v[12:13], v[42:43] offset:8
                                        ; implicit-def: $vgpr10_vgpr11
	s_waitcnt vmcnt(0) lgkmcnt(0)
	v_cmp_ne_u32_e32 vcc, 1, v1
	v_cmp_eq_u32_e64 s[20:21], 1, v1
	s_and_saveexec_b64 s[44:45], s[20:21]
	s_cbranch_execz .LBB12_1278
; %bb.1277:                             ;   in Loop: Header=BB12_1259 Depth=1
	flat_load_dword v6, v[12:13] offset:4 glc
	s_waitcnt vmcnt(0) lgkmcnt(0)
	v_ashrrev_i32_e32 v7, 31, v6
	v_lshrrev_b64 v[10:11], 1, v[6:7]
.LBB12_1278:                            ;   in Loop: Header=BB12_1259 Depth=1
	s_or_b64 exec, exec, s[44:45]
	s_orn2_b64 s[20:21], vcc, exec
	v_accvgpr_read_b32 v42, a41
.LBB12_1279:                            ;   in Loop: Header=BB12_1259 Depth=1
	s_or_b64 exec, exec, s[42:43]
	s_and_saveexec_b64 vcc, s[20:21]
; %bb.1280:                             ;   in Loop: Header=BB12_1259 Depth=1
	v_accvgpr_read_b32 v6, a18
	v_mad_i64_i32 v[10:11], s[20:21], v0, v6, 0
; %bb.1281:                             ;   in Loop: Header=BB12_1259 Depth=1
	s_or_b64 exec, exec, vcc
	v_lshlrev_b64 v[0:1], 1, v[10:11]
	v_accvgpr_read_b32 v6, a20
	v_accvgpr_read_b32 v7, a21
	v_add_co_u32_e32 v0, vcc, v6, v0
	v_addc_co_u32_e32 v1, vcc, v7, v1, vcc
	ds_write_b64 v0, v[0:1] offset:784
	v_and_b32_e32 v0, 0x2000, v62
	v_cmp_ne_u32_e32 vcc, 0, v0
	s_and_saveexec_b64 s[20:21], vcc
	s_cbranch_execz .LBB12_1283
; %bb.1282:                             ;   in Loop: Header=BB12_1259 Depth=1
	ds_read_b64 v[0:1], v0 offset:584
	s_waitcnt lgkmcnt(0)
	v_add_co_u32_e32 v0, vcc, 1, v0
	v_addc_co_u32_e32 v1, vcc, 0, v1, vcc
	ds_write_b64 v0, v[0:1] offset:584
.LBB12_1283:                            ;   in Loop: Header=BB12_1259 Depth=1
	s_or_b64 exec, exec, s[20:21]
	v_accvgpr_read_b32 v10, a10
	v_accvgpr_read_b32 v12, a12
	;; [unrolled: 1-line block ×3, first 2 shown]
	v_add_co_u32_e32 v12, vcc, 1, v12
	v_accvgpr_read_b32 v11, a11
	v_addc_co_u32_e32 v13, vcc, 0, v13, vcc
	v_accvgpr_write_b32 a10, v10
	v_accvgpr_write_b32 a11, v11
	;; [unrolled: 1-line block ×4, first 2 shown]
.LBB12_1284:                            ;   in Loop: Header=BB12_1259 Depth=1
	s_or_b64 exec, exec, s[40:41]
	s_and_saveexec_b64 s[20:21], s[10:11]
	s_cbranch_execz .LBB12_1303
; %bb.1285:                             ;   in Loop: Header=BB12_1259 Depth=1
	s_and_saveexec_b64 vcc, s[30:31]
	s_xor_b64 s[40:41], exec, vcc
	s_cbranch_execz .LBB12_1300
; %bb.1286:                             ;   in Loop: Header=BB12_1259 Depth=1
	s_and_saveexec_b64 s[42:43], s[12:13]
	s_cbranch_execz .LBB12_1299
; %bb.1287:                             ;   in Loop: Header=BB12_1259 Depth=1
	s_mov_b64 s[46:47], exec
	v_mbcnt_lo_u32_b32 v0, s46, 0
	v_mbcnt_hi_u32_b32 v0, s47, v0
	v_cmp_eq_u32_e32 vcc, 0, v0
	s_waitcnt vmcnt(0) lgkmcnt(0)
	buffer_wbinvl1_vol
	s_and_saveexec_b64 s[44:45], vcc
	s_cbranch_execz .LBB12_1289
; %bb.1288:                             ;   in Loop: Header=BB12_1259 Depth=1
	s_bcnt1_i32_b64 vcc_lo, s[46:47]
	v_mov_b32_e32 v42, vcc_lo
	ds_add_u64 v0, v[42:43]
	v_accvgpr_read_b32 v42, a41
	s_trap 2
.LBB12_1289:                            ;   in Loop: Header=BB12_1259 Depth=1
	s_or_b64 exec, exec, s[44:45]
	s_trap 2
	ds_read_b64 v[0:1], v0
	v_accvgpr_read_b32 v6, a14
	v_accvgpr_read_b32 v7, a15
	v_add_co_u32_e32 v6, vcc, v6, v2
	v_addc_co_u32_e32 v7, vcc, 0, v7, vcc
	v_accvgpr_write_b32 a15, v7
	v_accvgpr_write_b32 a14, v6
	s_waitcnt lgkmcnt(0)
	v_cmp_lt_u64_e32 vcc, v[0:1], v[6:7]
	s_and_saveexec_b64 s[44:45], vcc
	s_cbranch_execz .LBB12_1298
; %bb.1290:                             ;   in Loop: Header=BB12_1259 Depth=1
	s_mov_b32 s56, 0
	s_mov_b64 s[46:47], 0
                                        ; implicit-def: $sgpr48_sgpr49
                                        ; implicit-def: $sgpr50_sgpr51
	s_branch .LBB12_1292
.LBB12_1291:                            ;   in Loop: Header=BB12_1292 Depth=2
	s_or_b64 exec, exec, s[54:55]
	s_and_b64 vcc, exec, vcc
	s_or_b64 s[46:47], vcc, s[46:47]
	s_andn2_b64 vcc, s[48:49], exec
	s_and_b64 s[48:49], s[50:51], exec
	s_or_b64 s[48:49], vcc, s[48:49]
	s_andn2_b64 exec, exec, s[46:47]
	s_cbranch_execz .LBB12_1296
.LBB12_1292:                            ;   Parent Loop BB12_1259 Depth=1
                                        ; =>  This Inner Loop Header: Depth=2
	s_add_i32 s56, s56, 1
	s_cmpk_lg_i32 s56, 0x2710
	s_cselect_b64 s[52:53], -1, 0
	s_and_b64 vcc, exec, s[52:53]
                                        ; implicit-def: $sgpr54_sgpr55
	s_cbranch_vccnz .LBB12_1294
; %bb.1293:                             ;   in Loop: Header=BB12_1292 Depth=2
	s_trap 2
	ds_read_b64 v[0:1], v0
	s_andn2_b64 s[52:53], s[52:53], exec
	s_mov_b32 s56, 0
	s_mov_b64 s[54:55], -1
	s_waitcnt lgkmcnt(0)
	flat_load_dword v0, v[0:1] glc
	s_waitcnt vmcnt(0) lgkmcnt(0)
	buffer_invl2
	buffer_wbinvl1_vol
	v_cmp_eq_u32_e32 vcc, 0, v0
	s_and_b64 vcc, vcc, exec
	s_or_b64 s[52:53], s[52:53], vcc
.LBB12_1294:                            ;   in Loop: Header=BB12_1292 Depth=2
	s_andn2_b64 s[50:51], s[50:51], exec
	s_and_b64 s[54:55], s[54:55], exec
	s_mov_b64 vcc, -1
	s_or_b64 s[50:51], s[50:51], s[54:55]
	s_and_saveexec_b64 s[54:55], s[52:53]
	s_cbranch_execz .LBB12_1291
; %bb.1295:                             ;   in Loop: Header=BB12_1292 Depth=2
	s_sleep 1
	s_trap 2
	ds_read_b64 v[0:1], v0
	v_accvgpr_read_b32 v6, a14
	v_accvgpr_read_b32 v7, a15
	s_andn2_b64 s[50:51], s[50:51], exec
	s_waitcnt lgkmcnt(0)
	v_cmp_ge_u64_e32 vcc, v[0:1], v[6:7]
	s_orn2_b64 vcc, vcc, exec
	s_branch .LBB12_1291
.LBB12_1296:                            ;   in Loop: Header=BB12_1259 Depth=1
	s_or_b64 exec, exec, s[46:47]
	s_and_saveexec_b64 vcc, s[48:49]
	s_xor_b64 vcc, exec, vcc
	s_cbranch_execz .LBB12_1298
; %bb.1297:                             ;   in Loop: Header=BB12_1259 Depth=1
	v_mov_b32_e32 v0, 1
	ds_write_b32 v0, v0
	s_trap 2
.LBB12_1298:                            ;   in Loop: Header=BB12_1259 Depth=1
	s_or_b64 exec, exec, s[44:45]
	;;#ASMSTART
	s_wakeup
	;;#ASMEND
.LBB12_1299:                            ;   in Loop: Header=BB12_1259 Depth=1
	s_or_b64 exec, exec, s[42:43]
.LBB12_1300:                            ;   in Loop: Header=BB12_1259 Depth=1
	s_andn2_saveexec_b64 vcc, s[40:41]
	s_cbranch_execz .LBB12_1302
; %bb.1301:                             ;   in Loop: Header=BB12_1259 Depth=1
	s_waitcnt vmcnt(0) lgkmcnt(0)
	buffer_wbinvl1_vol
	s_barrier
.LBB12_1302:                            ;   in Loop: Header=BB12_1259 Depth=1
	s_or_b64 exec, exec, vcc
.LBB12_1303:                            ;   in Loop: Header=BB12_1259 Depth=1
	s_or_b64 exec, exec, s[20:21]
	s_trap 2
	ds_read_b32 v0, v0
	v_and_b32_e32 v1, 0x4000, v62
	v_cmp_ne_u32_e32 vcc, 0, v1
	s_and_b64 vcc, s[34:35], vcc
	s_and_saveexec_b64 s[20:21], vcc
	s_cbranch_execz .LBB12_1322
; %bb.1304:                             ;   in Loop: Header=BB12_1259 Depth=1
	s_and_saveexec_b64 vcc, s[30:31]
	s_xor_b64 s[40:41], exec, vcc
	s_cbranch_execz .LBB12_1319
; %bb.1305:                             ;   in Loop: Header=BB12_1259 Depth=1
	s_and_saveexec_b64 s[42:43], s[12:13]
	s_cbranch_execz .LBB12_1318
; %bb.1306:                             ;   in Loop: Header=BB12_1259 Depth=1
	s_mov_b64 s[46:47], exec
	v_mbcnt_lo_u32_b32 v1, s46, 0
	v_mbcnt_hi_u32_b32 v1, s47, v1
	v_cmp_eq_u32_e32 vcc, 0, v1
	s_waitcnt vmcnt(0) lgkmcnt(0)
	buffer_wbinvl1_vol
	s_and_saveexec_b64 s[44:45], vcc
	s_cbranch_execz .LBB12_1308
; %bb.1307:                             ;   in Loop: Header=BB12_1259 Depth=1
	s_bcnt1_i32_b64 vcc_lo, s[46:47]
	v_mov_b32_e32 v42, vcc_lo
	ds_add_u64 v0, v[42:43]
	v_accvgpr_read_b32 v42, a41
	s_trap 2
.LBB12_1308:                            ;   in Loop: Header=BB12_1259 Depth=1
	s_or_b64 exec, exec, s[44:45]
	s_trap 2
	ds_read_b64 v[6:7], v0
	v_accvgpr_read_b32 v10, a14
	v_accvgpr_read_b32 v11, a15
	v_add_co_u32_e32 v10, vcc, v10, v2
	v_addc_co_u32_e32 v11, vcc, 0, v11, vcc
	v_accvgpr_write_b32 a15, v11
	v_accvgpr_write_b32 a14, v10
	s_waitcnt lgkmcnt(0)
	v_cmp_lt_u64_e32 vcc, v[6:7], v[10:11]
	s_and_saveexec_b64 s[44:45], vcc
	s_cbranch_execz .LBB12_1317
; %bb.1309:                             ;   in Loop: Header=BB12_1259 Depth=1
	s_mov_b32 s56, 0
	s_mov_b64 s[46:47], 0
                                        ; implicit-def: $sgpr48_sgpr49
                                        ; implicit-def: $sgpr50_sgpr51
	s_branch .LBB12_1311
.LBB12_1310:                            ;   in Loop: Header=BB12_1311 Depth=2
	s_or_b64 exec, exec, s[54:55]
	s_and_b64 vcc, exec, vcc
	s_or_b64 s[46:47], vcc, s[46:47]
	s_andn2_b64 vcc, s[48:49], exec
	s_and_b64 s[48:49], s[50:51], exec
	s_or_b64 s[48:49], vcc, s[48:49]
	s_andn2_b64 exec, exec, s[46:47]
	s_cbranch_execz .LBB12_1315
.LBB12_1311:                            ;   Parent Loop BB12_1259 Depth=1
                                        ; =>  This Inner Loop Header: Depth=2
	s_add_i32 s56, s56, 1
	s_cmpk_lg_i32 s56, 0x2710
	s_cselect_b64 s[52:53], -1, 0
	s_and_b64 vcc, exec, s[52:53]
                                        ; implicit-def: $sgpr54_sgpr55
	s_cbranch_vccnz .LBB12_1313
; %bb.1312:                             ;   in Loop: Header=BB12_1311 Depth=2
	s_trap 2
	ds_read_b64 v[6:7], v0
	s_andn2_b64 s[52:53], s[52:53], exec
	s_mov_b32 s56, 0
	s_mov_b64 s[54:55], -1
	s_waitcnt lgkmcnt(0)
	flat_load_dword v1, v[6:7] glc
	s_waitcnt vmcnt(0) lgkmcnt(0)
	buffer_invl2
	buffer_wbinvl1_vol
	v_cmp_eq_u32_e32 vcc, 0, v1
	s_and_b64 vcc, vcc, exec
	s_or_b64 s[52:53], s[52:53], vcc
.LBB12_1313:                            ;   in Loop: Header=BB12_1311 Depth=2
	s_andn2_b64 s[50:51], s[50:51], exec
	s_and_b64 s[54:55], s[54:55], exec
	s_mov_b64 vcc, -1
	s_or_b64 s[50:51], s[50:51], s[54:55]
	s_and_saveexec_b64 s[54:55], s[52:53]
	s_cbranch_execz .LBB12_1310
; %bb.1314:                             ;   in Loop: Header=BB12_1311 Depth=2
	s_sleep 1
	s_trap 2
	ds_read_b64 v[6:7], v0
	v_accvgpr_read_b32 v10, a14
	v_accvgpr_read_b32 v11, a15
	s_andn2_b64 s[50:51], s[50:51], exec
	s_waitcnt lgkmcnt(0)
	v_cmp_ge_u64_e32 vcc, v[6:7], v[10:11]
	s_orn2_b64 vcc, vcc, exec
	s_branch .LBB12_1310
.LBB12_1315:                            ;   in Loop: Header=BB12_1259 Depth=1
	s_or_b64 exec, exec, s[46:47]
	s_and_saveexec_b64 vcc, s[48:49]
	s_xor_b64 vcc, exec, vcc
	s_cbranch_execz .LBB12_1317
; %bb.1316:                             ;   in Loop: Header=BB12_1259 Depth=1
	v_mov_b32_e32 v1, 1
	ds_write_b32 v0, v1
	s_trap 2
.LBB12_1317:                            ;   in Loop: Header=BB12_1259 Depth=1
	s_or_b64 exec, exec, s[44:45]
	;;#ASMSTART
	s_wakeup
	;;#ASMEND
.LBB12_1318:                            ;   in Loop: Header=BB12_1259 Depth=1
	s_or_b64 exec, exec, s[42:43]
.LBB12_1319:                            ;   in Loop: Header=BB12_1259 Depth=1
	s_andn2_saveexec_b64 vcc, s[40:41]
	s_cbranch_execz .LBB12_1321
; %bb.1320:                             ;   in Loop: Header=BB12_1259 Depth=1
	s_waitcnt vmcnt(0) lgkmcnt(0)
	buffer_wbinvl1_vol
	s_barrier
.LBB12_1321:                            ;   in Loop: Header=BB12_1259 Depth=1
	s_or_b64 exec, exec, vcc
.LBB12_1322:                            ;   in Loop: Header=BB12_1259 Depth=1
	s_or_b64 exec, exec, s[20:21]
	s_trap 2
	s_waitcnt lgkmcnt(0)
	ds_read_b64 v[6:7], v0
	s_waitcnt lgkmcnt(0)
	v_readfirstlane_b32 s20, v6
	v_readfirstlane_b32 s21, v7
	s_cmp_eq_u64 s[20:21], 0
	s_cselect_b64 s[20:21], -1, 0
	s_or_b64 vcc, s[20:21], s[20:21]
	s_mov_b64 s[20:21], 0
	s_and_b64 vcc, exec, vcc
	s_cbranch_vccnz .LBB12_1380
; %bb.1323:                             ;   in Loop: Header=BB12_1259 Depth=1
	s_mov_b64 s[20:21], -1
	s_and_saveexec_b64 s[40:41], s[14:15]
	s_cbranch_execz .LBB12_1325
; %bb.1324:                             ;   in Loop: Header=BB12_1259 Depth=1
	ds_read_b32 v1, v0 offset:720
	s_waitcnt lgkmcnt(0)
	v_and_b32_e32 v1, 15, v1
	v_cmp_eq_u32_e32 vcc, 0, v1
	s_orn2_b64 s[20:21], vcc, exec
.LBB12_1325:                            ;   in Loop: Header=BB12_1259 Depth=1
	s_or_b64 exec, exec, s[40:41]
	s_and_saveexec_b64 s[40:41], s[16:17]
	s_cbranch_execz .LBB12_1327
; %bb.1326:                             ;   in Loop: Header=BB12_1259 Depth=1
	ds_read_b32 v1, v0 offset:784
	s_waitcnt lgkmcnt(0)
	v_and_b32_e32 v1, 15, v1
	v_cmp_eq_u32_e32 vcc, 0, v1
	s_and_b64 vcc, s[20:21], vcc
	s_andn2_b64 s[20:21], s[20:21], exec
	s_and_b64 vcc, vcc, exec
	s_or_b64 s[20:21], s[20:21], vcc
.LBB12_1327:                            ;   in Loop: Header=BB12_1259 Depth=1
	s_or_b64 exec, exec, s[40:41]
	s_xor_b64 s[20:21], s[20:21], -1
	v_cmp_eq_u32_e32 vcc, 0, v0
	v_cndmask_b32_e64 v0, 0, 1, s[20:21]
	;;#ASMSTART
	;;#ASMEND
	s_trap 2
	ds_read_b64 v[30:31], v0
	v_cndmask_b32_e32 v1, 0, v5, vcc
	v_lshlrev_b32_e32 v57, 1, v1
	s_mov_b64 s[20:21], -1
	v_cmp_ne_u32_e32 vcc, 0, v0
	s_cbranch_vccz .LBB12_1336
; %bb.1328:                             ;   in Loop: Header=BB12_1259 Depth=1
	s_mov_b64 s[40:41], -1
	s_mov_b32 s42, 0
	s_cbranch_execnz .LBB12_1337
.LBB12_1329:                            ;   in Loop: Header=BB12_1259 Depth=1
	v_accvgpr_write_b32 a42, v1
	v_lshrrev_b32_e32 v0, 11, v1
	v_accvgpr_read_b32 v1, a19
	v_accvgpr_read_b32 v6, a24
	v_sub_u32_e32 v40, v0, v1
	s_waitcnt lgkmcnt(0)
	v_add_co_u32_e32 v54, vcc, v30, v6
	v_accvgpr_read_b32 v1, a25
	v_addc_co_u32_e32 v55, vcc, v31, v1, vcc
	v_cmp_lt_i32_e32 vcc, 0, v40
	s_mov_b64 s[42:43], 0
                                        ; implicit-def: $vgpr10_vgpr11
                                        ; implicit-def: $vgpr14_vgpr15
                                        ; implicit-def: $vgpr18_vgpr19
                                        ; implicit-def: $vgpr22_vgpr23
	s_and_saveexec_b64 s[20:21], vcc
	s_cbranch_execz .LBB12_1339
; %bb.1330:                             ;   in Loop: Header=BB12_1259 Depth=1
	s_trap 2
	ds_read_b64 v[6:7], v0
	v_accvgpr_read_b32 v10, a24
	v_accvgpr_read_b32 v1, a25
	s_mov_b64 s[46:47], 0
                                        ; implicit-def: $sgpr44_sgpr45
                                        ; implicit-def: $vgpr14_vgpr15
                                        ; implicit-def: $vgpr18_vgpr19
                                        ; implicit-def: $vgpr22_vgpr23
	s_waitcnt lgkmcnt(0)
	v_add_co_u32_e32 v52, vcc, v6, v10
	v_addc_co_u32_e32 v53, vcc, v7, v1, vcc
                                        ; implicit-def: $vgpr10_vgpr11
	s_branch .LBB12_1332
.LBB12_1331:                            ;   in Loop: Header=BB12_1332 Depth=2
	s_or_b64 exec, exec, s[48:49]
	v_add_co_u32_e32 v6, vcc, v54, v40
	v_addc_co_u32_e32 v7, vcc, v55, v41, vcc
	s_waitcnt vmcnt(0)
	global_store_dwordx4 v[54:55], v[26:29], off glc slc
	s_waitcnt vmcnt(3)
	global_store_dwordx4 v[54:55], v[32:35], off offset:1024 glc slc
	s_waitcnt vmcnt(3)
	global_store_dwordx4 v[54:55], v[36:39], off offset:2048 glc slc
	s_waitcnt vmcnt(3)
	global_store_dwordx4 v[54:55], v[48:51], off offset:3072 glc slc
	v_add_co_u32_e32 v54, vcc, s59, v6
	v_addc_co_u32_e32 v55, vcc, 0, v7, vcc
	v_add_co_u32_e32 v52, vcc, v52, v40
	v_addc_co_u32_e32 v53, vcc, v53, v41, vcc
	v_sub_u32_e32 v40, v45, v1
	v_cmp_gt_i32_e32 vcc, 1, v40
	s_or_b64 s[42:43], vcc, s[42:43]
	s_andn2_b64 vcc, s[44:45], exec
	s_and_b64 s[44:45], s[46:47], exec
	s_or_b64 s[44:45], vcc, s[44:45]
	s_andn2_b64 exec, exec, s[42:43]
	s_cbranch_execz .LBB12_1338
.LBB12_1332:                            ;   Parent Loop BB12_1259 Depth=1
                                        ; =>  This Inner Loop Header: Depth=2
	global_load_dwordx4 v[26:29], v[52:53], off glc slc
	global_load_dwordx4 v[32:35], v[52:53], off offset:1024 glc slc
	global_load_dwordx4 v[36:39], v[52:53], off offset:2048 glc slc
	;; [unrolled: 1-line block ×3, first 2 shown]
	s_and_saveexec_b64 s[48:49], s[46:47]
	s_cbranch_execz .LBB12_1334
; %bb.1333:                             ;   in Loop: Header=BB12_1332 Depth=2
	global_store_dwordx4 v[54:55], v[10:13], off glc slc
	global_store_dwordx4 v[54:55], v[14:17], off offset:1024 glc slc
	global_store_dwordx4 v[54:55], v[18:21], off offset:2048 glc slc
	;; [unrolled: 1-line block ×3, first 2 shown]
	v_add_co_u32_e32 v54, vcc, v54, v3
	v_addc_co_u32_e32 v55, vcc, v55, v4, vcc
.LBB12_1334:                            ;   in Loop: Header=BB12_1332 Depth=2
	s_or_b64 exec, exec, s[48:49]
	v_add_co_u32_e32 v52, vcc, v52, v3
	v_sub_u32_e32 v45, v40, v2
	v_addc_co_u32_e32 v53, vcc, v53, v4, vcc
	v_cmp_lt_i32_e64 s[46:47], 0, v45
	v_mov_b32_e32 v1, 0
	v_pk_mov_b32 v[40:41], 0, 0
	s_and_saveexec_b64 s[48:49], s[46:47]
	s_cbranch_execz .LBB12_1331
; %bb.1335:                             ;   in Loop: Header=BB12_1332 Depth=2
	global_load_dwordx4 v[10:13], v[52:53], off glc slc
	global_load_dwordx4 v[14:17], v[52:53], off offset:1024 glc slc
	global_load_dwordx4 v[18:21], v[52:53], off offset:2048 glc slc
	;; [unrolled: 1-line block ×3, first 2 shown]
	v_add_co_u32_e32 v52, vcc, 0x1000, v52
	v_accvgpr_read_b32 v41, a29
	v_addc_co_u32_e32 v53, vcc, 0, v53, vcc
	v_mov_b32_e32 v1, v2
	v_accvgpr_read_b32 v40, a28
	s_branch .LBB12_1331
.LBB12_1336:                            ;   in Loop: Header=BB12_1259 Depth=1
	s_mov_b64 s[40:41], 0
                                        ; implicit-def: $sgpr42
	s_andn2_b64 vcc, exec, s[20:21]
	s_cbranch_vccz .LBB12_1329
.LBB12_1337:                            ;   in Loop: Header=BB12_1259 Depth=1
	v_mov_b32_e32 v16, s42
	v_accvgpr_write_b32 a42, v1
	v_mov_b32_e32 v17, v8
	v_accvgpr_read_b32 v1, a19
	s_and_saveexec_b64 s[20:21], s[40:41]
	s_cbranch_execnz .LBB12_1358
	s_branch .LBB12_1379
.LBB12_1338:                            ;   in Loop: Header=BB12_1259 Depth=1
	s_or_b64 exec, exec, s[42:43]
	s_and_b64 s[42:43], s[44:45], exec
.LBB12_1339:                            ;   in Loop: Header=BB12_1259 Depth=1
	s_or_b64 exec, exec, s[20:21]
	s_and_saveexec_b64 s[20:21], s[42:43]
	s_cbranch_execz .LBB12_1341
; %bb.1340:                             ;   in Loop: Header=BB12_1259 Depth=1
	global_store_dwordx4 v[54:55], v[10:13], off glc slc
	global_store_dwordx4 v[54:55], v[14:17], off offset:1024 glc slc
	global_store_dwordx4 v[54:55], v[18:21], off offset:2048 glc slc
	;; [unrolled: 1-line block ×3, first 2 shown]
.LBB12_1341:                            ;   in Loop: Header=BB12_1259 Depth=1
	s_or_b64 exec, exec, s[20:21]
	v_lshlrev_b32_e32 v22, 12, v0
	v_cmp_ne_u32_e32 vcc, v57, v22
                                        ; implicit-def: $vgpr16
                                        ; implicit-def: $vgpr17
                                        ; implicit-def: $vgpr1
	s_and_saveexec_b64 s[42:43], vcc
	s_cbranch_execz .LBB12_1357
; %bb.1342:                             ;   in Loop: Header=BB12_1259 Depth=1
	v_lshlrev_b32_e32 v0, 6, v40
	v_sub_u32_e32 v0, v8, v0
	v_ashrrev_i32_e32 v6, 31, v0
	v_lshrrev_b32_e32 v6, 26, v6
	v_add_u32_e32 v6, v0, v6
	v_ashrrev_i32_e32 v7, 6, v6
	v_and_b32_e32 v6, 0xffffffc0, v6
	v_sub_u32_e32 v23, v0, v6
	v_lshlrev_b32_e32 v0, 4, v23
	v_sub_u32_e32 v1, v57, v22
	v_lshl_add_u32 v6, v7, 10, v0
	v_add_u32_e32 v0, v6, v22
	v_sub_u32_e32 v27, v1, v6
	v_ashrrev_i32_e32 v6, 31, v1
	v_lshrrev_b32_e32 v6, 22, v6
	v_add_u32_e32 v6, v1, v6
	v_and_b32_e32 v24, 0xfffffc00, v6
	v_sub_u32_e32 v26, v1, v24
	v_mov_b32_e32 v28, v8
	v_ashrrev_i32_e32 v8, 10, v6
	v_cmp_lt_i32_e64 s[20:21], 15, v26
	v_addc_co_u32_e64 v1, vcc, 0, v8, s[20:21]
	v_ashrrev_i32_e32 v13, 31, v0
	v_add_co_u32_e32 v18, vcc, v0, v30
	v_addc_co_u32_e32 v19, vcc, v13, v31, vcc
	v_sub_u32_e32 v25, v1, v7
	v_cmp_lt_i32_e32 vcc, 15, v27
	s_mov_b64 s[46:47], 0
                                        ; implicit-def: $vgpr10_vgpr11
	s_and_saveexec_b64 s[44:45], vcc
	s_cbranch_execz .LBB12_1352
; %bb.1343:                             ;   in Loop: Header=BB12_1259 Depth=1
	s_trap 2
	ds_read_b64 v[6:7], v0
	s_mov_b64 s[50:51], 0
	v_accvgpr_read_b32 v8, a34
                                        ; implicit-def: $sgpr48_sgpr49
                                        ; implicit-def: $vgpr10_vgpr11
	s_waitcnt lgkmcnt(0)
	v_add_co_u32_e32 v20, vcc, v6, v0
	v_addc_co_u32_e32 v21, vcc, v7, v13, vcc
	v_accvgpr_read_b32 v6, a30
	v_accvgpr_read_b32 v7, a33
	s_branch .LBB12_1345
.LBB12_1344:                            ;   in Loop: Header=BB12_1345 Depth=2
	s_or_b64 exec, exec, s[52:53]
	v_cmp_gt_i32_e32 vcc, 16, v27
	s_or_b64 s[46:47], vcc, s[46:47]
	s_andn2_b64 vcc, s[48:49], exec
	s_and_b64 s[48:49], s[50:51], exec
	s_or_b64 s[48:49], vcc, s[48:49]
	s_andn2_b64 exec, exec, s[46:47]
	s_cbranch_execz .LBB12_1351
.LBB12_1345:                            ;   Parent Loop BB12_1259 Depth=1
                                        ; =>  This Inner Loop Header: Depth=2
	global_load_dwordx4 v[14:17], v[20:21], off glc slc
	s_and_saveexec_b64 s[52:53], s[50:51]
	s_cbranch_execz .LBB12_1347
; %bb.1346:                             ;   in Loop: Header=BB12_1345 Depth=2
	v_add_co_u32_e32 v0, vcc, v18, v7
	v_addc_co_u32_e32 v1, vcc, v19, v8, vcc
	global_store_dwordx4 v[18:19], v[10:13], off glc slc
	v_pk_mov_b32 v[18:19], v[0:1], v[0:1] op_sel:[0,1]
.LBB12_1347:                            ;   in Loop: Header=BB12_1345 Depth=2
	s_or_b64 exec, exec, s[52:53]
	v_add_co_u32_e32 v20, vcc, v20, v7
	v_sub_u32_e32 v27, v27, v6
	v_addc_co_u32_e32 v21, vcc, v21, v8, vcc
	v_cmp_lt_i32_e64 s[50:51], 15, v27
	s_and_saveexec_b64 s[52:53], s[50:51]
	s_cbranch_execz .LBB12_1349
; %bb.1348:                             ;   in Loop: Header=BB12_1345 Depth=2
	global_load_dwordx4 v[10:13], v[20:21], off glc slc
	v_add_co_u32_e32 v20, vcc, 0x400, v20
	v_addc_co_u32_e32 v21, vcc, 0, v21, vcc
.LBB12_1349:                            ;   in Loop: Header=BB12_1345 Depth=2
	s_or_b64 exec, exec, s[52:53]
	s_waitcnt vmcnt(0)
	global_store_dwordx4 v[18:19], v[14:17], off glc slc
	v_add_co_u32_e32 v18, vcc, 0x400, v18
	v_sub_u32_e32 v25, v25, v2
	v_addc_co_u32_e32 v19, vcc, 0, v19, vcc
	s_and_saveexec_b64 s[52:53], s[50:51]
	s_cbranch_execz .LBB12_1344
; %bb.1350:                             ;   in Loop: Header=BB12_1345 Depth=2
	v_accvgpr_read_b32 v0, a32
	v_add_co_u32_e32 v18, vcc, v18, v0
	v_accvgpr_read_b32 v1, a31
	v_addc_co_u32_e32 v19, vcc, v19, v1, vcc
	v_add_co_u32_e32 v20, vcc, v20, v0
	v_addc_co_u32_e32 v21, vcc, v21, v1, vcc
	v_sub_u32_e32 v27, v27, v6
	v_sub_u32_e32 v25, v25, v2
	s_branch .LBB12_1344
.LBB12_1351:                            ;   in Loop: Header=BB12_1259 Depth=1
	s_or_b64 exec, exec, s[46:47]
	s_and_b64 s[46:47], s[48:49], exec
.LBB12_1352:                            ;   in Loop: Header=BB12_1259 Depth=1
	s_or_b64 exec, exec, s[44:45]
	s_mov_b64 vcc, exec
	s_and_b64 s[44:45], vcc, s[46:47]
	v_mov_b32_e32 v8, v28
	s_mov_b64 exec, s[44:45]
	s_cbranch_execz .LBB12_1354
; %bb.1353:                             ;   in Loop: Header=BB12_1259 Depth=1
	global_store_dwordx4 v[18:19], v[10:13], off glc slc
.LBB12_1354:                            ;   in Loop: Header=BB12_1259 Depth=1
	s_or_b64 exec, exec, vcc
	v_and_b32_e32 v0, 14, v57
	v_cndmask_b32_e64 v57, v26, v0, s[20:21]
	v_cmp_ne_u32_e32 vcc, 0, v57
	s_mov_b64 s[46:47], s[40:41]
                                        ; implicit-def: $vgpr16
                                        ; implicit-def: $vgpr17
                                        ; implicit-def: $vgpr1
	s_and_saveexec_b64 s[44:45], vcc
	s_cbranch_execz .LBB12_1356
; %bb.1355:                             ;   in Loop: Header=BB12_1259 Depth=1
	v_sub_u32_e32 v0, v26, v0
	v_cndmask_b32_e64 v0, 0, v0, s[20:21]
	v_cmp_lt_i32_e32 vcc, 0, v25
	v_add3_u32 v16, v24, v22, v0
	v_cndmask_b32_e32 v0, 0, v2, vcc
	v_sub_u32_e32 v0, v0, v25
	v_lshl_add_u32 v0, v0, 6, v23
	v_ashrrev_i32_e32 v1, 31, v0
	v_lshrrev_b32_e32 v1, 26, v1
	v_add_u32_e32 v6, v0, v1
	v_ashrrev_i32_e32 v1, 6, v6
	v_and_b32_e32 v6, 0xffffffc0, v6
	v_sub_u32_e32 v17, v0, v6
	s_or_b64 s[46:47], s[40:41], exec
.LBB12_1356:                            ;   in Loop: Header=BB12_1259 Depth=1
	s_or_b64 exec, exec, s[44:45]
	s_andn2_b64 s[20:21], s[40:41], exec
	s_and_b64 vcc, s[46:47], exec
	s_or_b64 s[40:41], s[20:21], vcc
.LBB12_1357:                            ;   in Loop: Header=BB12_1259 Depth=1
	s_or_b64 exec, exec, s[42:43]
	s_and_saveexec_b64 s[20:21], s[40:41]
	s_cbranch_execz .LBB12_1379
.LBB12_1358:                            ;   in Loop: Header=BB12_1259 Depth=1
	v_lshlrev_b32_e32 v0, 11, v1
	v_lshlrev_b32_e32 v6, 1, v17
	v_add3_u32 v0, v16, v6, v0
	v_ashrrev_i32_e32 v6, 31, v57
	v_lshrrev_b32_e32 v6, 21, v6
	v_add_u32_e32 v6, v57, v6
	v_ashrrev_i32_e32 v6, 11, v6
	v_ashrrev_i32_e32 v13, 31, v0
	s_waitcnt lgkmcnt(0)
	v_add_co_u32_e32 v10, vcc, v30, v0
	v_sub_u32_e32 v14, v6, v1
	v_addc_co_u32_e32 v11, vcc, v31, v13, vcc
	v_cmp_lt_i32_e32 vcc, 0, v14
	s_mov_b64 s[42:43], 0
                                        ; implicit-def: $vgpr19
                                        ; implicit-def: $vgpr20
                                        ; implicit-def: $vgpr21
                                        ; implicit-def: $vgpr22
                                        ; implicit-def: $vgpr23
                                        ; implicit-def: $vgpr24
                                        ; implicit-def: $vgpr25
                                        ; implicit-def: $vgpr26
                                        ; implicit-def: $vgpr27
                                        ; implicit-def: $vgpr28
                                        ; implicit-def: $vgpr29
                                        ; implicit-def: $vgpr32
                                        ; implicit-def: $vgpr33
                                        ; implicit-def: $vgpr34
                                        ; implicit-def: $vgpr35
                                        ; implicit-def: $vgpr36
	s_and_saveexec_b64 s[40:41], vcc
	s_cbranch_execz .LBB12_1366
; %bb.1359:                             ;   in Loop: Header=BB12_1259 Depth=1
	v_accvgpr_write_b32 a43, v6
	s_trap 2
	ds_read_b64 v[6:7], v0
	s_mov_b64 s[46:47], 0
                                        ; implicit-def: $sgpr44_sgpr45
                                        ; implicit-def: $vgpr19
                                        ; implicit-def: $vgpr20
                                        ; implicit-def: $vgpr21
                                        ; implicit-def: $vgpr22
                                        ; implicit-def: $vgpr23
                                        ; implicit-def: $vgpr24
                                        ; implicit-def: $vgpr25
                                        ; implicit-def: $vgpr26
                                        ; implicit-def: $vgpr27
                                        ; implicit-def: $vgpr28
                                        ; implicit-def: $vgpr29
                                        ; implicit-def: $vgpr32
                                        ; implicit-def: $vgpr33
                                        ; implicit-def: $vgpr34
                                        ; implicit-def: $vgpr35
                                        ; implicit-def: $vgpr36
	s_waitcnt lgkmcnt(0)
	v_add_co_u32_e32 v12, vcc, v6, v0
	v_addc_co_u32_e32 v13, vcc, v7, v13, vcc
	s_branch .LBB12_1361
.LBB12_1360:                            ;   in Loop: Header=BB12_1361 Depth=2
	s_or_b64 exec, exec, s[48:49]
	s_waitcnt vmcnt(0) lgkmcnt(0)
	flat_store_short v[10:11], v0 glc slc
	flat_store_short v[10:11], v37 offset:128 glc slc
	flat_store_short v[10:11], v38 offset:256 glc slc
	;; [unrolled: 1-line block ×15, first 2 shown]
	v_add_co_u32_e32 v0, vcc, v10, v14
	v_addc_co_u32_e32 v6, vcc, v11, v15, vcc
	v_add_co_u32_e32 v10, vcc, s60, v0
	v_addc_co_u32_e32 v11, vcc, 0, v6, vcc
	;; [unrolled: 2-line block ×3, first 2 shown]
	v_sub_u32_e32 v14, v45, v1
	v_cmp_gt_i32_e32 vcc, 1, v14
	s_or_b64 s[42:43], vcc, s[42:43]
	s_andn2_b64 vcc, s[44:45], exec
	s_and_b64 s[44:45], s[46:47], exec
	s_or_b64 s[44:45], vcc, s[44:45]
	s_andn2_b64 exec, exec, s[42:43]
	s_cbranch_execz .LBB12_1365
.LBB12_1361:                            ;   Parent Loop BB12_1259 Depth=1
                                        ; =>  This Inner Loop Header: Depth=2
	flat_load_ushort v0, v[12:13] glc slc
	flat_load_ushort v37, v[12:13] offset:128 glc slc
	flat_load_ushort v38, v[12:13] offset:256 glc slc
	;; [unrolled: 1-line block ×15, first 2 shown]
	s_and_saveexec_b64 s[48:49], s[46:47]
	s_cbranch_execz .LBB12_1363
; %bb.1362:                             ;   in Loop: Header=BB12_1361 Depth=2
	flat_store_short v[10:11], v19 glc slc
	flat_store_short v[10:11], v20 offset:128 glc slc
	flat_store_short v[10:11], v21 offset:256 glc slc
	;; [unrolled: 1-line block ×15, first 2 shown]
	v_add_co_u32_e32 v10, vcc, v10, v59
	v_addc_co_u32_e32 v11, vcc, v11, v44, vcc
.LBB12_1363:                            ;   in Loop: Header=BB12_1361 Depth=2
	s_or_b64 exec, exec, s[48:49]
	v_add_co_u32_e32 v12, vcc, v12, v59
	v_sub_u32_e32 v45, v14, v2
	v_addc_co_u32_e32 v13, vcc, v13, v44, vcc
	v_cmp_lt_i32_e64 s[46:47], 0, v45
	v_mov_b32_e32 v1, 0
	v_pk_mov_b32 v[14:15], 0, 0
	s_and_saveexec_b64 s[48:49], s[46:47]
	s_cbranch_execz .LBB12_1360
; %bb.1364:                             ;   in Loop: Header=BB12_1361 Depth=2
	flat_load_ushort v19, v[12:13] glc slc
	flat_load_ushort v20, v[12:13] offset:128 glc slc
	flat_load_ushort v21, v[12:13] offset:256 glc slc
	;; [unrolled: 1-line block ×15, first 2 shown]
	v_add_co_u32_e32 v12, vcc, 0x800, v12
	v_accvgpr_read_b32 v14, a36
	v_addc_co_u32_e32 v13, vcc, 0, v13, vcc
	v_mov_b32_e32 v1, v2
	v_accvgpr_read_b32 v15, a37
	s_branch .LBB12_1360
.LBB12_1365:                            ;   in Loop: Header=BB12_1259 Depth=1
	s_or_b64 exec, exec, s[42:43]
	s_and_b64 s[42:43], s[44:45], exec
	v_accvgpr_read_b32 v6, a43
.LBB12_1366:                            ;   in Loop: Header=BB12_1259 Depth=1
	s_or_b64 exec, exec, s[40:41]
	s_and_saveexec_b64 vcc, s[42:43]
	s_cbranch_execz .LBB12_1368
; %bb.1367:                             ;   in Loop: Header=BB12_1259 Depth=1
	flat_store_short v[10:11], v19 glc slc
	flat_store_short v[10:11], v20 offset:128 glc slc
	flat_store_short v[10:11], v21 offset:256 glc slc
	;; [unrolled: 1-line block ×15, first 2 shown]
.LBB12_1368:                            ;   in Loop: Header=BB12_1259 Depth=1
	s_or_b64 exec, exec, vcc
	v_lshlrev_b32_e32 v0, 11, v6
	v_cmp_ne_u32_e32 vcc, v57, v0
	s_and_b64 vcc, exec, vcc
	v_accvgpr_read_b32 v18, a35
	v_accvgpr_read_b32 v19, a40
	s_mov_b64 exec, vcc
	s_cbranch_execz .LBB12_1379
; %bb.1369:                             ;   in Loop: Header=BB12_1259 Depth=1
	v_lshlrev_b32_e32 v1, 6, v14
	v_sub_u32_e32 v1, v17, v1
	v_ashrrev_i32_e32 v6, 31, v1
	v_lshrrev_b32_e32 v6, 26, v6
	v_add_u32_e32 v6, v1, v6
	v_and_b32_e32 v7, 0x7fffffc0, v6
	v_sub_u32_e32 v1, v1, v7
	v_lshlrev_b32_e32 v6, 1, v6
	v_and_b32_e32 v6, 0xffffff80, v6
	v_lshlrev_b32_e32 v1, 1, v1
	v_add3_u32 v1, v6, v1, v0
	v_add_u32_e32 v0, v1, v16
	v_ashrrev_i32_e32 v13, 31, v0
	v_add_co_u32_e32 v10, vcc, v30, v0
	v_sub_u32_e32 v1, v57, v1
	v_addc_co_u32_e32 v11, vcc, v31, v13, vcc
	v_cmp_lt_i32_e32 vcc, 1, v1
	s_mov_b64 s[42:43], 0
                                        ; implicit-def: $vgpr16
	s_and_saveexec_b64 s[40:41], vcc
	s_cbranch_execz .LBB12_1377
; %bb.1370:                             ;   in Loop: Header=BB12_1259 Depth=1
	s_trap 2
	ds_read_b64 v[6:7], v0
	s_mov_b64 s[46:47], 0
                                        ; implicit-def: $sgpr44_sgpr45
                                        ; implicit-def: $vgpr16
	s_waitcnt lgkmcnt(0)
	v_add_co_u32_e32 v12, vcc, v6, v0
	v_addc_co_u32_e32 v13, vcc, v7, v13, vcc
	s_branch .LBB12_1372
.LBB12_1371:                            ;   in Loop: Header=BB12_1372 Depth=2
	s_or_b64 exec, exec, s[48:49]
	s_waitcnt vmcnt(0) lgkmcnt(0)
	flat_store_short v[10:11], v0 glc slc
	v_add_co_u32_e32 v0, vcc, v10, v14
	v_addc_co_u32_e32 v7, vcc, v11, v15, vcc
	v_add_co_u32_e32 v12, vcc, v12, v14
	v_addc_co_u32_e32 v13, vcc, v13, v15, vcc
	;; [unrolled: 2-line block ×3, first 2 shown]
	v_sub_u32_e32 v1, v1, v6
	v_cmp_gt_i32_e32 vcc, 2, v1
	s_or_b64 s[42:43], vcc, s[42:43]
	s_andn2_b64 vcc, s[44:45], exec
	s_and_b64 s[44:45], s[46:47], exec
	s_or_b64 s[44:45], vcc, s[44:45]
	s_andn2_b64 exec, exec, s[42:43]
	s_cbranch_execz .LBB12_1376
.LBB12_1372:                            ;   Parent Loop BB12_1259 Depth=1
                                        ; =>  This Inner Loop Header: Depth=2
	flat_load_ushort v0, v[12:13] glc slc
	s_and_saveexec_b64 s[48:49], s[46:47]
	s_cbranch_execz .LBB12_1374
; %bb.1373:                             ;   in Loop: Header=BB12_1372 Depth=2
	v_add_co_u32_e32 v6, vcc, v10, v19
	v_addc_co_u32_e32 v7, vcc, v11, v42, vcc
	flat_store_short v[10:11], v16 glc slc
	v_pk_mov_b32 v[10:11], v[6:7], v[6:7] op_sel:[0,1]
.LBB12_1374:                            ;   in Loop: Header=BB12_1372 Depth=2
	s_or_b64 exec, exec, s[48:49]
	v_add_co_u32_e32 v12, vcc, v12, v19
	v_sub_u32_e32 v1, v1, v18
	v_addc_co_u32_e32 v13, vcc, v13, v42, vcc
	v_cmp_lt_i32_e64 s[46:47], 1, v1
	v_mov_b32_e32 v6, 0
	v_pk_mov_b32 v[14:15], 0, 0
	s_and_saveexec_b64 s[48:49], s[46:47]
	s_cbranch_execz .LBB12_1371
; %bb.1375:                             ;   in Loop: Header=BB12_1372 Depth=2
	flat_load_ushort v16, v[12:13] glc slc
	v_add_co_u32_e32 v12, vcc, 0x80, v12
	v_accvgpr_read_b32 v14, a38
	v_addc_co_u32_e32 v13, vcc, 0, v13, vcc
	v_mov_b32_e32 v6, v18
	v_accvgpr_read_b32 v15, a39
	s_branch .LBB12_1371
.LBB12_1376:                            ;   in Loop: Header=BB12_1259 Depth=1
	s_or_b64 exec, exec, s[42:43]
	s_and_b64 s[42:43], s[44:45], exec
.LBB12_1377:                            ;   in Loop: Header=BB12_1259 Depth=1
	s_or_b64 exec, exec, s[40:41]
	s_and_b64 exec, exec, s[42:43]
	s_cbranch_execz .LBB12_1379
; %bb.1378:                             ;   in Loop: Header=BB12_1259 Depth=1
	flat_store_short v[10:11], v16 glc slc
.LBB12_1379:                            ;   in Loop: Header=BB12_1259 Depth=1
	s_or_b64 exec, exec, s[20:21]
	v_accvgpr_read_b32 v0, a42
	v_cmp_ne_u32_e64 s[20:21], 0, v0
.LBB12_1380:                            ;   in Loop: Header=BB12_1259 Depth=1
	s_and_saveexec_b64 s[40:41], s[10:11]
	s_cbranch_execz .LBB12_1399
; %bb.1381:                             ;   in Loop: Header=BB12_1259 Depth=1
	s_and_saveexec_b64 vcc, s[30:31]
	s_xor_b64 s[42:43], exec, vcc
	s_cbranch_execz .LBB12_1396
; %bb.1382:                             ;   in Loop: Header=BB12_1259 Depth=1
	s_and_saveexec_b64 s[44:45], s[12:13]
	s_cbranch_execz .LBB12_1395
; %bb.1383:                             ;   in Loop: Header=BB12_1259 Depth=1
	s_mov_b64 s[48:49], exec
	v_mbcnt_lo_u32_b32 v0, s48, 0
	v_mbcnt_hi_u32_b32 v0, s49, v0
	v_cmp_eq_u32_e32 vcc, 0, v0
	s_waitcnt vmcnt(0) lgkmcnt(0)
	buffer_wbinvl1_vol
	s_and_saveexec_b64 s[46:47], vcc
	s_cbranch_execz .LBB12_1385
; %bb.1384:                             ;   in Loop: Header=BB12_1259 Depth=1
	s_bcnt1_i32_b64 vcc_lo, s[48:49]
	v_mov_b32_e32 v42, vcc_lo
	ds_add_u64 v0, v[42:43]
	v_accvgpr_read_b32 v42, a41
	s_trap 2
.LBB12_1385:                            ;   in Loop: Header=BB12_1259 Depth=1
	s_or_b64 exec, exec, s[46:47]
	s_trap 2
	ds_read_b64 v[0:1], v0
	v_accvgpr_read_b32 v6, a14
	v_accvgpr_read_b32 v7, a15
	v_add_co_u32_e32 v6, vcc, v6, v2
	v_addc_co_u32_e32 v7, vcc, 0, v7, vcc
	v_accvgpr_write_b32 a15, v7
	v_accvgpr_write_b32 a14, v6
	s_waitcnt lgkmcnt(0)
	v_cmp_lt_u64_e32 vcc, v[0:1], v[6:7]
	s_and_saveexec_b64 s[46:47], vcc
	s_cbranch_execz .LBB12_1394
; %bb.1386:                             ;   in Loop: Header=BB12_1259 Depth=1
	s_mov_b32 s62, 0
	s_mov_b64 s[48:49], 0
                                        ; implicit-def: $sgpr50_sgpr51
                                        ; implicit-def: $sgpr52_sgpr53
	s_branch .LBB12_1388
.LBB12_1387:                            ;   in Loop: Header=BB12_1388 Depth=2
	s_or_b64 exec, exec, s[56:57]
	s_and_b64 vcc, exec, vcc
	s_or_b64 s[48:49], vcc, s[48:49]
	s_andn2_b64 vcc, s[50:51], exec
	s_and_b64 s[50:51], s[52:53], exec
	s_or_b64 s[50:51], vcc, s[50:51]
	s_andn2_b64 exec, exec, s[48:49]
	s_cbranch_execz .LBB12_1392
.LBB12_1388:                            ;   Parent Loop BB12_1259 Depth=1
                                        ; =>  This Inner Loop Header: Depth=2
	s_add_i32 s62, s62, 1
	s_cmpk_lg_i32 s62, 0x2710
	s_cselect_b64 s[54:55], -1, 0
	s_and_b64 vcc, exec, s[54:55]
                                        ; implicit-def: $sgpr56_sgpr57
	s_cbranch_vccnz .LBB12_1390
; %bb.1389:                             ;   in Loop: Header=BB12_1388 Depth=2
	s_trap 2
	ds_read_b64 v[0:1], v0
	s_andn2_b64 s[54:55], s[54:55], exec
	s_mov_b32 s62, 0
	s_mov_b64 s[56:57], -1
	s_waitcnt lgkmcnt(0)
	flat_load_dword v0, v[0:1] glc
	s_waitcnt vmcnt(0) lgkmcnt(0)
	buffer_invl2
	buffer_wbinvl1_vol
	v_cmp_eq_u32_e32 vcc, 0, v0
	s_and_b64 vcc, vcc, exec
	s_or_b64 s[54:55], s[54:55], vcc
.LBB12_1390:                            ;   in Loop: Header=BB12_1388 Depth=2
	s_andn2_b64 s[52:53], s[52:53], exec
	s_and_b64 s[56:57], s[56:57], exec
	s_mov_b64 vcc, -1
	s_or_b64 s[52:53], s[52:53], s[56:57]
	s_and_saveexec_b64 s[56:57], s[54:55]
	s_cbranch_execz .LBB12_1387
; %bb.1391:                             ;   in Loop: Header=BB12_1388 Depth=2
	s_sleep 1
	s_trap 2
	ds_read_b64 v[0:1], v0
	v_accvgpr_read_b32 v6, a14
	v_accvgpr_read_b32 v7, a15
	s_andn2_b64 s[52:53], s[52:53], exec
	s_waitcnt lgkmcnt(0)
	v_cmp_ge_u64_e32 vcc, v[0:1], v[6:7]
	s_orn2_b64 vcc, vcc, exec
	s_branch .LBB12_1387
.LBB12_1392:                            ;   in Loop: Header=BB12_1259 Depth=1
	s_or_b64 exec, exec, s[48:49]
	s_and_saveexec_b64 vcc, s[50:51]
	s_xor_b64 vcc, exec, vcc
	s_cbranch_execz .LBB12_1394
; %bb.1393:                             ;   in Loop: Header=BB12_1259 Depth=1
	v_mov_b32_e32 v0, 1
	ds_write_b32 v0, v0
	s_trap 2
.LBB12_1394:                            ;   in Loop: Header=BB12_1259 Depth=1
	s_or_b64 exec, exec, s[46:47]
	;;#ASMSTART
	s_wakeup
	;;#ASMEND
.LBB12_1395:                            ;   in Loop: Header=BB12_1259 Depth=1
	s_or_b64 exec, exec, s[44:45]
.LBB12_1396:                            ;   in Loop: Header=BB12_1259 Depth=1
	s_andn2_saveexec_b64 vcc, s[42:43]
	s_cbranch_execz .LBB12_1398
; %bb.1397:                             ;   in Loop: Header=BB12_1259 Depth=1
	s_waitcnt vmcnt(0) lgkmcnt(0)
	buffer_wbinvl1_vol
	s_barrier
.LBB12_1398:                            ;   in Loop: Header=BB12_1259 Depth=1
	s_or_b64 exec, exec, vcc
.LBB12_1399:                            ;   in Loop: Header=BB12_1259 Depth=1
	s_or_b64 exec, exec, s[40:41]
	v_and_b32_e32 v0, 16, v62
	v_cmp_ne_u32_e32 vcc, 0, v0
	s_and_b64 vcc, vcc, s[20:21]
	s_and_saveexec_b64 s[20:21], vcc
	s_cbranch_execz .LBB12_1401
; %bb.1400:                             ;   in Loop: Header=BB12_1259 Depth=1
	s_waitcnt vmcnt(0) lgkmcnt(0)
	buffer_wbinvl1_vol
.LBB12_1401:                            ;   in Loop: Header=BB12_1259 Depth=1
	s_or_b64 exec, exec, s[20:21]
	v_cmp_ne_u32_e32 vcc, 0, v0
	s_and_saveexec_b64 s[20:21], vcc
	s_cbranch_execz .LBB12_1405
; %bb.1402:                             ;   in Loop: Header=BB12_1259 Depth=1
	s_and_saveexec_b64 vcc, s[18:19]
	s_cbranch_execz .LBB12_1404
; %bb.1403:                             ;   in Loop: Header=BB12_1259 Depth=1
	v_accvgpr_read_b32 v0, a26
	v_accvgpr_read_b32 v1, a27
	v_mov_b32_e32 v6, 1
	flat_store_dword v[0:1], v6
.LBB12_1404:                            ;   in Loop: Header=BB12_1259 Depth=1
	s_or_b64 exec, exec, vcc
	v_accvgpr_read_b32 v10, a10
	v_accvgpr_read_b32 v12, a12
	;; [unrolled: 1-line block ×3, first 2 shown]
	v_add_co_u32_e32 v12, vcc, 1, v12
	v_accvgpr_read_b32 v11, a11
	v_addc_co_u32_e32 v13, vcc, 0, v13, vcc
	v_accvgpr_write_b32 a10, v10
	v_accvgpr_read_b32 v0, a16
	v_accvgpr_write_b32 a11, v11
	v_accvgpr_write_b32 a12, v12
	v_accvgpr_write_b32 a13, v13
	v_accvgpr_read_b32 v1, a17
	flat_store_dwordx2 v[0:1], v[12:13]
.LBB12_1405:                            ;   in Loop: Header=BB12_1259 Depth=1
	s_or_b64 exec, exec, s[20:21]
	v_mov_b32_e32 v0, v5
.LBB12_1406:                            ;   in Loop: Header=BB12_1259 Depth=1
	s_or_b64 exec, exec, s[38:39]
	s_and_saveexec_b64 s[38:39], s[36:37]
	s_cbranch_execz .LBB12_1258
; %bb.1407:                             ;   in Loop: Header=BB12_1259 Depth=1
	v_and_b32_e32 v1, 8, v62
	v_cmp_ne_u32_e32 vcc, 0, v1
	s_mov_b64 s[36:37], -1
	s_and_saveexec_b64 s[20:21], vcc
	s_cbranch_execz .LBB12_1419
; %bb.1408:                             ;   in Loop: Header=BB12_1259 Depth=1
	v_add_co_u32_e32 v6, vcc, 8, v46
	v_accvgpr_read_b32 v10, a10
	v_addc_co_u32_e32 v7, vcc, 0, v47, vcc
	v_accvgpr_read_b32 v12, a12
	v_accvgpr_read_b32 v11, a11
	;; [unrolled: 1-line block ×3, first 2 shown]
	v_add_co_u32_e32 v10, vcc, 1, v12
	v_addc_co_u32_e32 v11, vcc, 0, v13, vcc
	v_cmp_lt_u64_e32 vcc, v[6:7], v[10:11]
	v_mov_b32_e32 v1, 1
	s_and_saveexec_b64 s[36:37], vcc
	s_cbranch_execz .LBB12_1418
; %bb.1409:                             ;   in Loop: Header=BB12_1259 Depth=1
	s_mov_b64 s[40:41], 0
	v_mov_b32_e32 v1, 0
                                        ; implicit-def: $sgpr42_sgpr43
	s_branch .LBB12_1413
.LBB12_1410:                            ;   in Loop: Header=BB12_1413 Depth=2
	s_or_b64 exec, exec, s[50:51]
	v_mov_b32_e32 v6, 0
	s_orn2_b64 s[48:49], s[48:49], exec
.LBB12_1411:                            ;   in Loop: Header=BB12_1413 Depth=2
	s_or_b64 exec, exec, s[46:47]
	s_andn2_b64 vcc, s[42:43], exec
	s_and_b64 s[42:43], s[48:49], exec
	s_or_b64 s[42:43], vcc, s[42:43]
	v_mov_b32_e32 v1, v6
.LBB12_1412:                            ;   in Loop: Header=BB12_1413 Depth=2
	s_or_b64 exec, exec, s[44:45]
	s_waitcnt vmcnt(0) lgkmcnt(0)
	v_add_co_u32_e32 v6, vcc, 8, v46
	v_addc_co_u32_e32 v7, vcc, 0, v47, vcc
	v_cmp_ge_u64_e32 vcc, v[6:7], v[10:11]
	s_xor_b64 s[44:45], s[42:43], -1
	s_or_b64 vcc, s[44:45], vcc
	s_and_b64 vcc, exec, vcc
	s_or_b64 s[40:41], vcc, s[40:41]
	s_andn2_b64 exec, exec, s[40:41]
	s_cbranch_execz .LBB12_1417
.LBB12_1413:                            ;   Parent Loop BB12_1259 Depth=1
                                        ; =>  This Inner Loop Header: Depth=2
	v_accvgpr_read_b32 v6, a16
	v_accvgpr_read_b32 v7, a17
	s_sleep 1
	flat_load_dwordx2 v[46:47], v[6:7] glc
	v_and_b32_e32 v6, 64, v62
	v_cmp_eq_u32_e32 vcc, 0, v6
	s_andn2_b64 s[42:43], s[42:43], exec
	s_and_saveexec_b64 s[44:45], vcc
	s_cbranch_execz .LBB12_1412
; %bb.1414:                             ;   in Loop: Header=BB12_1413 Depth=2
	v_add_u32_e32 v6, 1, v1
	v_cmp_lt_i32_e32 vcc, s61, v1
	s_mov_b64 s[48:49], -1
	s_and_saveexec_b64 s[46:47], vcc
	s_cbranch_execz .LBB12_1411
; %bb.1415:                             ;   in Loop: Header=BB12_1413 Depth=2
	s_trap 2
	ds_read_b64 v[6:7], v0
	s_waitcnt vmcnt(0) lgkmcnt(0)
	flat_load_dword v1, v[6:7] glc
	s_waitcnt vmcnt(0) lgkmcnt(0)
	buffer_invl2
	buffer_wbinvl1_vol
	v_cmp_ne_u32_e32 vcc, 0, v1
	s_and_saveexec_b64 s[50:51], vcc
	s_cbranch_execz .LBB12_1410
; %bb.1416:                             ;   in Loop: Header=BB12_1413 Depth=2
	v_or_b32_e32 v62, 64, v62
	s_xor_b64 s[48:49], exec, -1
	ds_write_b32 v0, v1
	s_trap 2
	s_branch .LBB12_1410
.LBB12_1417:                            ;   in Loop: Header=BB12_1259 Depth=1
	s_or_b64 exec, exec, s[40:41]
	v_and_b32_e32 v1, 8, v62
.LBB12_1418:                            ;   in Loop: Header=BB12_1259 Depth=1
	s_or_b64 exec, exec, s[36:37]
	v_cmp_eq_u32_e32 vcc, 0, v1
	s_orn2_b64 s[36:37], vcc, exec
	;;#ASMSTART
	s_wakeup
	;;#ASMEND
.LBB12_1419:                            ;   in Loop: Header=BB12_1259 Depth=1
	s_or_b64 exec, exec, s[20:21]
	v_sub_u32_e32 v0, v56, v0
	s_xor_b64 s[20:21], s[36:37], -1
	v_min_i32_e32 v10, v5, v0
	s_and_saveexec_b64 s[36:37], s[20:21]
	s_cbranch_execz .LBB12_1429
; %bb.1420:                             ;   in Loop: Header=BB12_1259 Depth=1
	v_accvgpr_read_b32 v15, a13
	v_and_b32_e32 v0, 0x100, v62
	v_accvgpr_read_b32 v14, a12
	v_cmp_ne_u32_e32 vcc, 0, v0
	v_accvgpr_read_b32 v13, a11
	v_accvgpr_read_b32 v12, a10
	v_and_b32_e32 v0, 7, v14
	s_mov_b64 s[20:21], -1
                                        ; implicit-def: $vgpr12_vgpr13
	s_and_saveexec_b64 s[40:41], vcc
	s_cbranch_execz .LBB12_1424
; %bb.1421:                             ;   in Loop: Header=BB12_1259 Depth=1
	v_accvgpr_read_b32 v15, a13
	v_accvgpr_read_b32 v14, a12
	;; [unrolled: 1-line block ×4, first 2 shown]
	v_mad_u64_u32 v[14:15], s[20:21], v0, 24, v[12:13]
	flat_load_dword v1, v[14:15]
	v_ashrrev_i32_e32 v11, 31, v10
	v_lshlrev_b64 v[6:7], 1, v[10:11]
	flat_store_dwordx2 v[14:15], v[6:7] offset:8
                                        ; implicit-def: $vgpr12_vgpr13
	s_waitcnt vmcnt(0) lgkmcnt(0)
	v_cmp_ne_u32_e32 vcc, 1, v1
	v_cmp_eq_u32_e64 s[20:21], 1, v1
	s_and_saveexec_b64 s[42:43], s[20:21]
	s_cbranch_execz .LBB12_1423
; %bb.1422:                             ;   in Loop: Header=BB12_1259 Depth=1
	flat_load_dword v6, v[14:15] offset:4 glc
	s_waitcnt vmcnt(0) lgkmcnt(0)
	v_ashrrev_i32_e32 v7, 31, v6
	v_lshrrev_b64 v[12:13], 1, v[6:7]
.LBB12_1423:                            ;   in Loop: Header=BB12_1259 Depth=1
	s_or_b64 exec, exec, s[42:43]
	s_orn2_b64 s[20:21], vcc, exec
.LBB12_1424:                            ;   in Loop: Header=BB12_1259 Depth=1
	s_or_b64 exec, exec, s[40:41]
	s_and_saveexec_b64 vcc, s[20:21]
; %bb.1425:                             ;   in Loop: Header=BB12_1259 Depth=1
	v_accvgpr_read_b32 v6, a18
	v_mad_i64_i32 v[12:13], s[20:21], v0, v6, 0
; %bb.1426:                             ;   in Loop: Header=BB12_1259 Depth=1
	s_or_b64 exec, exec, vcc
	v_lshlrev_b64 v[0:1], 1, v[12:13]
	v_accvgpr_read_b32 v6, a20
	v_accvgpr_read_b32 v7, a21
	v_add_co_u32_e32 v0, vcc, v6, v0
	v_addc_co_u32_e32 v1, vcc, v7, v1, vcc
	ds_write_b64 v0, v[0:1] offset:784
	v_and_b32_e32 v0, 0x2000, v62
	v_cmp_ne_u32_e32 vcc, 0, v0
	s_and_saveexec_b64 s[20:21], vcc
	s_cbranch_execz .LBB12_1428
; %bb.1427:                             ;   in Loop: Header=BB12_1259 Depth=1
	ds_read_b64 v[0:1], v0 offset:584
	s_waitcnt lgkmcnt(0)
	v_add_co_u32_e32 v0, vcc, 1, v0
	v_addc_co_u32_e32 v1, vcc, 0, v1, vcc
	ds_write_b64 v0, v[0:1] offset:584
.LBB12_1428:                            ;   in Loop: Header=BB12_1259 Depth=1
	s_or_b64 exec, exec, s[20:21]
	v_accvgpr_read_b32 v15, a13
	v_accvgpr_read_b32 v14, a12
	;; [unrolled: 1-line block ×3, first 2 shown]
	v_add_co_u32_e32 v14, vcc, 1, v14
	v_accvgpr_read_b32 v13, a11
	v_addc_co_u32_e32 v15, vcc, 0, v15, vcc
	v_accvgpr_write_b32 a10, v12
	v_accvgpr_write_b32 a11, v13
	;; [unrolled: 1-line block ×4, first 2 shown]
.LBB12_1429:                            ;   in Loop: Header=BB12_1259 Depth=1
	s_or_b64 exec, exec, s[36:37]
	s_and_saveexec_b64 s[20:21], s[10:11]
	s_cbranch_execz .LBB12_1448
; %bb.1430:                             ;   in Loop: Header=BB12_1259 Depth=1
	s_and_saveexec_b64 vcc, s[30:31]
	s_xor_b64 s[36:37], exec, vcc
	s_cbranch_execz .LBB12_1445
; %bb.1431:                             ;   in Loop: Header=BB12_1259 Depth=1
	s_and_saveexec_b64 s[40:41], s[12:13]
	s_cbranch_execz .LBB12_1444
; %bb.1432:                             ;   in Loop: Header=BB12_1259 Depth=1
	s_mov_b64 s[44:45], exec
	v_mbcnt_lo_u32_b32 v0, s44, 0
	v_mbcnt_hi_u32_b32 v0, s45, v0
	v_cmp_eq_u32_e32 vcc, 0, v0
	s_waitcnt vmcnt(0) lgkmcnt(0)
	buffer_wbinvl1_vol
	s_and_saveexec_b64 s[42:43], vcc
	s_cbranch_execz .LBB12_1434
; %bb.1433:                             ;   in Loop: Header=BB12_1259 Depth=1
	s_bcnt1_i32_b64 vcc_lo, s[44:45]
	v_mov_b32_e32 v42, vcc_lo
	ds_add_u64 v0, v[42:43]
	v_accvgpr_read_b32 v42, a41
	s_trap 2
.LBB12_1434:                            ;   in Loop: Header=BB12_1259 Depth=1
	s_or_b64 exec, exec, s[42:43]
	s_trap 2
	ds_read_b64 v[0:1], v0
	v_accvgpr_read_b32 v6, a14
	v_accvgpr_read_b32 v7, a15
	v_add_co_u32_e32 v6, vcc, v6, v2
	v_addc_co_u32_e32 v7, vcc, 0, v7, vcc
	v_accvgpr_write_b32 a15, v7
	v_accvgpr_write_b32 a14, v6
	s_waitcnt lgkmcnt(0)
	v_cmp_lt_u64_e32 vcc, v[0:1], v[6:7]
	s_and_saveexec_b64 s[42:43], vcc
	s_cbranch_execz .LBB12_1443
; %bb.1435:                             ;   in Loop: Header=BB12_1259 Depth=1
	s_mov_b32 s54, 0
	s_mov_b64 s[44:45], 0
                                        ; implicit-def: $sgpr46_sgpr47
                                        ; implicit-def: $sgpr48_sgpr49
	s_branch .LBB12_1437
.LBB12_1436:                            ;   in Loop: Header=BB12_1437 Depth=2
	s_or_b64 exec, exec, s[52:53]
	s_and_b64 vcc, exec, vcc
	s_or_b64 s[44:45], vcc, s[44:45]
	s_andn2_b64 vcc, s[46:47], exec
	s_and_b64 s[46:47], s[48:49], exec
	s_or_b64 s[46:47], vcc, s[46:47]
	s_andn2_b64 exec, exec, s[44:45]
	s_cbranch_execz .LBB12_1441
.LBB12_1437:                            ;   Parent Loop BB12_1259 Depth=1
                                        ; =>  This Inner Loop Header: Depth=2
	s_add_i32 s54, s54, 1
	s_cmpk_lg_i32 s54, 0x2710
	s_cselect_b64 s[50:51], -1, 0
	s_and_b64 vcc, exec, s[50:51]
                                        ; implicit-def: $sgpr52_sgpr53
	s_cbranch_vccnz .LBB12_1439
; %bb.1438:                             ;   in Loop: Header=BB12_1437 Depth=2
	s_trap 2
	ds_read_b64 v[0:1], v0
	s_andn2_b64 s[50:51], s[50:51], exec
	s_mov_b32 s54, 0
	s_mov_b64 s[52:53], -1
	s_waitcnt lgkmcnt(0)
	flat_load_dword v0, v[0:1] glc
	s_waitcnt vmcnt(0) lgkmcnt(0)
	buffer_invl2
	buffer_wbinvl1_vol
	v_cmp_eq_u32_e32 vcc, 0, v0
	s_and_b64 vcc, vcc, exec
	s_or_b64 s[50:51], s[50:51], vcc
.LBB12_1439:                            ;   in Loop: Header=BB12_1437 Depth=2
	s_andn2_b64 s[48:49], s[48:49], exec
	s_and_b64 s[52:53], s[52:53], exec
	s_mov_b64 vcc, -1
	s_or_b64 s[48:49], s[48:49], s[52:53]
	s_and_saveexec_b64 s[52:53], s[50:51]
	s_cbranch_execz .LBB12_1436
; %bb.1440:                             ;   in Loop: Header=BB12_1437 Depth=2
	s_sleep 1
	s_trap 2
	ds_read_b64 v[0:1], v0
	v_accvgpr_read_b32 v6, a14
	v_accvgpr_read_b32 v7, a15
	s_andn2_b64 s[48:49], s[48:49], exec
	s_waitcnt lgkmcnt(0)
	v_cmp_ge_u64_e32 vcc, v[0:1], v[6:7]
	s_orn2_b64 vcc, vcc, exec
	s_branch .LBB12_1436
.LBB12_1441:                            ;   in Loop: Header=BB12_1259 Depth=1
	s_or_b64 exec, exec, s[44:45]
	s_and_saveexec_b64 vcc, s[46:47]
	s_xor_b64 vcc, exec, vcc
	s_cbranch_execz .LBB12_1443
; %bb.1442:                             ;   in Loop: Header=BB12_1259 Depth=1
	v_mov_b32_e32 v0, 1
	ds_write_b32 v0, v0
	s_trap 2
.LBB12_1443:                            ;   in Loop: Header=BB12_1259 Depth=1
	s_or_b64 exec, exec, s[42:43]
	;;#ASMSTART
	s_wakeup
	;;#ASMEND
.LBB12_1444:                            ;   in Loop: Header=BB12_1259 Depth=1
	s_or_b64 exec, exec, s[40:41]
.LBB12_1445:                            ;   in Loop: Header=BB12_1259 Depth=1
	s_andn2_saveexec_b64 vcc, s[36:37]
	s_cbranch_execz .LBB12_1447
; %bb.1446:                             ;   in Loop: Header=BB12_1259 Depth=1
	s_waitcnt vmcnt(0) lgkmcnt(0)
	buffer_wbinvl1_vol
	s_barrier
.LBB12_1447:                            ;   in Loop: Header=BB12_1259 Depth=1
	s_or_b64 exec, exec, vcc
.LBB12_1448:                            ;   in Loop: Header=BB12_1259 Depth=1
	s_or_b64 exec, exec, s[20:21]
	s_trap 2
	ds_read_b32 v1, v0
	v_cmp_lt_i32_e32 vcc, 0, v10
	v_and_b32_e32 v0, 16, v62
	s_waitcnt lgkmcnt(0)
	v_readfirstlane_b32 s20, v1
	s_cmp_eq_u32 s20, 0
	s_cselect_b64 s[20:21], -1, 0
	s_and_b64 s[20:21], vcc, s[20:21]
	v_cmp_ne_u32_e32 vcc, 0, v0
	s_and_b64 vcc, vcc, s[20:21]
	s_and_saveexec_b64 s[20:21], vcc
	s_cbranch_execz .LBB12_1450
; %bb.1449:                             ;   in Loop: Header=BB12_1259 Depth=1
	s_waitcnt vmcnt(0)
	buffer_wbinvl1_vol
.LBB12_1450:                            ;   in Loop: Header=BB12_1259 Depth=1
	s_or_b64 exec, exec, s[20:21]
	v_cmp_ne_u32_e32 vcc, 0, v0
	s_and_saveexec_b64 s[20:21], vcc
	s_cbranch_execz .LBB12_1257
; %bb.1451:                             ;   in Loop: Header=BB12_1259 Depth=1
	s_and_saveexec_b64 vcc, s[18:19]
	s_cbranch_execz .LBB12_1256
; %bb.1452:                             ;   in Loop: Header=BB12_1259 Depth=1
	v_accvgpr_read_b32 v0, a26
	v_accvgpr_read_b32 v1, a27
	v_mov_b32_e32 v5, 1
	flat_store_dword v[0:1], v5
	s_branch .LBB12_1256
.LBB12_1453:
	s_or_b64 exec, exec, s[26:27]
	v_accvgpr_read_b32 v23, a5
	v_accvgpr_read_b32 v51, a13
	;; [unrolled: 1-line block ×3, first 2 shown]
	v_mov_b32_e32 v29, v9
	s_waitcnt lgkmcnt(0)
	v_accvgpr_read_b32 v31, a0
	v_accvgpr_read_b32 v30, a1
	;; [unrolled: 1-line block ×7, first 2 shown]
.LBB12_1454:
	s_or_b64 exec, exec, s[24:25]
.LBB12_1455:
	s_or_b64 exec, exec, s[22:23]
	v_and_b32_e32 v0, 0x800, v62
	v_cmp_eq_u32_e32 vcc, 0, v0
	s_and_saveexec_b64 s[4:5], vcc
	s_cbranch_execz .LBB12_1490
; %bb.1456:
	v_and_b32_e32 v0, 48, v62
	v_cmp_ne_u32_e32 vcc, 0, v0
	s_and_saveexec_b64 s[6:7], vcc
	s_cbranch_execz .LBB12_1458
; %bb.1457:
	s_waitcnt vmcnt(0) lgkmcnt(0)
	flat_store_dwordx2 v[22:23], v[50:51] offset:104
.LBB12_1458:
	s_or_b64 exec, exec, s[6:7]
	s_movk_i32 s6, 0x88
	v_and_b32_e32 v0, 0x88, v62
	v_cmp_eq_u32_e32 vcc, s6, v0
	s_and_saveexec_b64 s[6:7], vcc
	s_cbranch_execz .LBB12_1470
; %bb.1459:
	s_waitcnt vmcnt(0) lgkmcnt(0)
	v_add_u32_e32 v0, -1, v50
	v_and_b32_e32 v0, 7, v0
	v_mad_u64_u32 v[0:1], s[10:11], v0, 24, v[48:49]
	v_add_co_u32_e32 v0, vcc, 8, v0
	v_addc_co_u32_e32 v1, vcc, 0, v1, vcc
	s_mov_b64 s[10:11], 0
	v_mov_b32_e32 v2, 0
	s_movk_i32 s24, 0x270e
                                        ; implicit-def: $sgpr12_sgpr13
	s_branch .LBB12_1464
.LBB12_1460:                            ;   in Loop: Header=BB12_1464 Depth=1
	s_or_b64 exec, exec, s[22:23]
	v_mov_b32_e32 v3, 0
	s_orn2_b64 s[20:21], s[20:21], exec
.LBB12_1461:                            ;   in Loop: Header=BB12_1464 Depth=1
	s_or_b64 exec, exec, s[18:19]
	s_and_b64 s[18:19], s[20:21], exec
	v_mov_b32_e32 v2, v3
.LBB12_1462:                            ;   in Loop: Header=BB12_1464 Depth=1
	s_or_b64 exec, exec, s[16:17]
	s_xor_b64 s[16:17], s[18:19], -1
	s_andn2_b64 s[12:13], s[12:13], exec
	s_and_b64 s[16:17], s[16:17], exec
	s_or_b64 s[12:13], s[12:13], s[16:17]
.LBB12_1463:                            ;   in Loop: Header=BB12_1464 Depth=1
	s_or_b64 exec, exec, s[14:15]
	s_and_b64 s[14:15], exec, s[12:13]
	s_or_b64 s[10:11], s[14:15], s[10:11]
	s_andn2_b64 exec, exec, s[10:11]
	s_cbranch_execz .LBB12_1469
.LBB12_1464:                            ; =>This Inner Loop Header: Depth=1
	flat_load_dwordx2 v[4:5], v[0:1] glc
	s_waitcnt vmcnt(0)
	s_or_b64 s[12:13], s[12:13], exec
	s_waitcnt lgkmcnt(0)
	v_cmp_ne_u64_e32 vcc, -1, v[4:5]
	s_and_saveexec_b64 s[14:15], vcc
	s_cbranch_execz .LBB12_1463
; %bb.1465:                             ;   in Loop: Header=BB12_1464 Depth=1
	v_and_b32_e32 v3, 64, v62
	v_cmp_eq_u32_e32 vcc, 0, v3
	s_mov_b64 s[18:19], 0
	s_and_saveexec_b64 s[16:17], vcc
	s_cbranch_execz .LBB12_1462
; %bb.1466:                             ;   in Loop: Header=BB12_1464 Depth=1
	v_add_u32_e32 v3, 1, v2
	v_cmp_lt_i32_e32 vcc, s24, v2
	s_mov_b64 s[20:21], -1
	s_and_saveexec_b64 s[18:19], vcc
	s_cbranch_execz .LBB12_1461
; %bb.1467:                             ;   in Loop: Header=BB12_1464 Depth=1
	s_trap 2
	ds_read_b64 v[2:3], v0
	s_waitcnt lgkmcnt(0)
	flat_load_dword v2, v[2:3] glc
	s_waitcnt vmcnt(0) lgkmcnt(0)
	buffer_invl2
	buffer_wbinvl1_vol
	v_cmp_ne_u32_e32 vcc, 0, v2
	s_and_saveexec_b64 s[22:23], vcc
	s_cbranch_execz .LBB12_1460
; %bb.1468:                             ;   in Loop: Header=BB12_1464 Depth=1
	v_or_b32_e32 v62, 64, v62
	s_xor_b64 s[20:21], exec, -1
	ds_write_b32 v0, v2
	s_trap 2
	s_branch .LBB12_1460
.LBB12_1469:
	s_or_b64 exec, exec, s[10:11]
.LBB12_1470:
	s_or_b64 exec, exec, s[6:7]
	v_and_b32_e32 v0, 0x2000, v62
	v_cmp_ne_u32_e32 vcc, 0, v0
	s_and_saveexec_b64 s[6:7], vcc
	s_cbranch_execz .LBB12_1472
; %bb.1471:
	s_trap 2
	ds_read_b64 v[0:1], v0
	v_accvgpr_read_b32 v2, a8
	v_accvgpr_read_b32 v3, a9
	s_waitcnt lgkmcnt(0)
	flat_store_dwordx2 v[2:3], v[0:1] offset:16
.LBB12_1472:
	s_or_b64 exec, exec, s[6:7]
	v_cmp_ne_u32_e32 vcc, 64, v29
	s_and_b64 exec, exec, vcc
	s_cbranch_execz .LBB12_1490
; %bb.1473:
	s_waitcnt vmcnt(0)
	v_cmp_ne_u32_sdwa s[6:7], v30, v29 src0_sel:WORD_0 src1_sel:DWORD
	s_and_saveexec_b64 s[10:11], s[6:7]
	s_xor_b64 s[6:7], exec, s[10:11]
	s_cbranch_execz .LBB12_1488
; %bb.1474:
	v_and_b32_e32 v0, 63, v31
	v_cmp_eq_u32_e32 vcc, 0, v0
	s_and_saveexec_b64 s[10:11], vcc
	s_cbranch_execz .LBB12_1487
; %bb.1475:
	s_mov_b64 s[14:15], exec
	v_mbcnt_lo_u32_b32 v0, s14, 0
	v_mbcnt_hi_u32_b32 v0, s15, v0
	v_cmp_eq_u32_e32 vcc, 0, v0
	s_waitcnt lgkmcnt(0)
	buffer_wbinvl1_vol
	s_and_saveexec_b64 s[12:13], vcc
	s_cbranch_execz .LBB12_1477
; %bb.1476:
	s_bcnt1_i32_b64 s14, s[14:15]
	v_mov_b32_e32 v0, s14
	v_mov_b32_e32 v1, 0
	ds_add_u64 v0, v[0:1]
	s_trap 2
.LBB12_1477:
	s_or_b64 exec, exec, s[12:13]
	v_ashrrev_i32_e32 v0, 31, v29
	v_lshrrev_b32_e32 v0, 26, v0
	v_add_u32_e32 v0, v29, v0
	v_ashrrev_i32_e32 v0, 6, v0
	s_trap 2
	ds_read_b64 v[2:3], v0
	v_ashrrev_i32_e32 v1, 31, v0
	v_add_co_u32_e32 v0, vcc, v26, v0
	v_addc_co_u32_e32 v1, vcc, v27, v1, vcc
	s_waitcnt lgkmcnt(0)
	v_cmp_lt_u64_e32 vcc, v[2:3], v[0:1]
	s_and_saveexec_b64 s[12:13], vcc
	s_cbranch_execz .LBB12_1486
; %bb.1478:
	s_mov_b32 s26, 0
	s_mov_b64 s[14:15], 0
                                        ; implicit-def: $sgpr16_sgpr17
                                        ; implicit-def: $sgpr18_sgpr19
	s_branch .LBB12_1480
.LBB12_1479:                            ;   in Loop: Header=BB12_1480 Depth=1
	s_or_b64 exec, exec, s[24:25]
	s_and_b64 s[20:21], exec, s[22:23]
	s_or_b64 s[14:15], s[20:21], s[14:15]
	s_andn2_b64 s[16:17], s[16:17], exec
	s_and_b64 s[20:21], s[18:19], exec
	s_or_b64 s[16:17], s[16:17], s[20:21]
	s_andn2_b64 exec, exec, s[14:15]
	s_cbranch_execz .LBB12_1484
.LBB12_1480:                            ; =>This Inner Loop Header: Depth=1
	s_add_i32 s26, s26, 1
	s_cmpk_lg_i32 s26, 0x2710
	s_cselect_b64 s[20:21], -1, 0
	s_and_b64 vcc, exec, s[20:21]
                                        ; implicit-def: $sgpr24_sgpr25
	s_cbranch_vccnz .LBB12_1482
; %bb.1481:                             ;   in Loop: Header=BB12_1480 Depth=1
	s_trap 2
	ds_read_b64 v[2:3], v0
	s_andn2_b64 s[20:21], s[20:21], exec
	s_mov_b32 s26, 0
	s_mov_b64 s[24:25], -1
	s_waitcnt lgkmcnt(0)
	flat_load_dword v2, v[2:3] glc
	s_waitcnt vmcnt(0) lgkmcnt(0)
	buffer_invl2
	buffer_wbinvl1_vol
	v_cmp_eq_u32_e32 vcc, 0, v2
	s_and_b64 s[22:23], vcc, exec
	s_or_b64 s[20:21], s[20:21], s[22:23]
.LBB12_1482:                            ;   in Loop: Header=BB12_1480 Depth=1
	s_andn2_b64 s[18:19], s[18:19], exec
	s_and_b64 s[24:25], s[24:25], exec
	s_mov_b64 s[22:23], -1
	s_or_b64 s[18:19], s[18:19], s[24:25]
	s_and_saveexec_b64 s[24:25], s[20:21]
	s_cbranch_execz .LBB12_1479
; %bb.1483:                             ;   in Loop: Header=BB12_1480 Depth=1
	s_sleep 1
	s_trap 2
	ds_read_b64 v[2:3], v0
	s_andn2_b64 s[18:19], s[18:19], exec
	s_waitcnt lgkmcnt(0)
	v_cmp_ge_u64_e32 vcc, v[2:3], v[0:1]
	s_orn2_b64 s[22:23], vcc, exec
	s_branch .LBB12_1479
.LBB12_1484:
	s_or_b64 exec, exec, s[14:15]
	s_and_saveexec_b64 s[14:15], s[16:17]
	s_xor_b64 s[14:15], exec, s[14:15]
	s_cbranch_execz .LBB12_1486
; %bb.1485:
	v_mov_b32_e32 v0, 1
	ds_write_b32 v0, v0
	s_trap 2
.LBB12_1486:
	s_or_b64 exec, exec, s[12:13]
	;;#ASMSTART
	s_wakeup
	;;#ASMEND
.LBB12_1487:
	s_or_b64 exec, exec, s[10:11]
.LBB12_1488:
	s_andn2_saveexec_b64 s[6:7], s[6:7]
	s_cbranch_execz .LBB12_1490
; %bb.1489:
	s_waitcnt lgkmcnt(0)
	buffer_wbinvl1_vol
	s_barrier
.LBB12_1490:
	s_or_b64 exec, exec, s[4:5]
.LBB12_1491:
	s_andn2_saveexec_b64 s[26:27], s[28:29]
	s_cbranch_execz .LBB12_1493
; %bb.1492:
	s_getpc_b64 s[4:5]
	s_add_u32 s4, s4, __PRETTY_FUNCTION__._ZN10PrimitivesI12hip_bfloat167FuncSumIS0_E12FanSymmetricILi1EELi0E11ProtoSimpleILi1ELi1ELi0ELi4ELi0ELi0EELi0ELb0ELi0ELi1ELi0EEC2EiiPKiS9_PKvPvmhhhP15ncclDevWorkCollP14ncclDevWorkP2pii@rel32@lo+4
	s_addc_u32 s5, s5, __PRETTY_FUNCTION__._ZN10PrimitivesI12hip_bfloat167FuncSumIS0_E12FanSymmetricILi1EELi0E11ProtoSimpleILi1ELi1ELi0ELi4ELi0ELi0EELi0ELb0ELi0ELi1ELi0EEC2EiiPKiS9_PKvPvmhhhP15ncclDevWorkCollP14ncclDevWorkP2pii@rel32@hi+12
	v_mov_b32_e32 v0, s4
	v_mov_b32_e32 v1, s5
	s_getpc_b64 s[6:7]
	s_add_u32 s6, s6, __assert_fail@rel32@lo+4
	s_addc_u32 s7, s7, __assert_fail@rel32@hi+12
	s_swappc_b64 s[30:31], s[6:7]
	; divergent unreachable
.LBB12_1493:
	s_or_b64 exec, exec, s[26:27]
	s_waitcnt lgkmcnt(0)
	buffer_load_dword a51, off, s[0:3], s33 ; 4-byte Folded Reload
	buffer_load_dword a50, off, s[0:3], s33 offset:4 ; 4-byte Folded Reload
	buffer_load_dword a49, off, s[0:3], s33 offset:8 ; 4-byte Folded Reload
	;; [unrolled: 1-line block ×34, first 2 shown]
	v_readlane_b32 s30, v63, 39
	v_readlane_b32 s31, v63, 40
	v_readlane_b32 s72, v63, 38
	v_readlane_b32 s71, v63, 37
	v_readlane_b32 s70, v63, 36
	v_readlane_b32 s69, v63, 35
	v_readlane_b32 s68, v63, 34
	v_readlane_b32 s67, v63, 33
	v_readlane_b32 s66, v63, 32
	v_readlane_b32 s65, v63, 31
	v_readlane_b32 s64, v63, 30
	v_readlane_b32 s63, v63, 29
	v_readlane_b32 s62, v63, 28
	v_readlane_b32 s61, v63, 27
	v_readlane_b32 s60, v63, 26
	v_readlane_b32 s59, v63, 25
	v_readlane_b32 s58, v63, 24
	v_readlane_b32 s57, v63, 23
	v_readlane_b32 s56, v63, 22
	v_readlane_b32 s55, v63, 21
	v_readlane_b32 s54, v63, 20
	v_readlane_b32 s53, v63, 19
	v_readlane_b32 s52, v63, 18
	v_readlane_b32 s51, v63, 17
	v_readlane_b32 s50, v63, 16
	v_readlane_b32 s49, v63, 15
	v_readlane_b32 s48, v63, 14
	v_readlane_b32 s47, v63, 13
	v_readlane_b32 s46, v63, 12
	v_readlane_b32 s45, v63, 11
	v_readlane_b32 s44, v63, 10
	v_readlane_b32 s43, v63, 9
	v_readlane_b32 s42, v63, 8
	v_readlane_b32 s41, v63, 7
	v_readlane_b32 s40, v63, 6
	v_readlane_b32 s39, v63, 5
	v_readlane_b32 s38, v63, 4
	v_readlane_b32 s37, v63, 3
	v_readlane_b32 s36, v63, 2
	v_readlane_b32 s35, v63, 1
	v_readlane_b32 s34, v63, 0
	v_readlane_b32 s4, v63, 41
	s_or_saveexec_b64 s[6:7], -1
	buffer_load_dword v63, off, s[0:3], s33 offset:208 ; 4-byte Folded Reload
	s_mov_b64 exec, s[6:7]
	s_addk_i32 s32, 0xc800
	s_mov_b32 s33, s4
	s_waitcnt vmcnt(0)
	s_setpc_b64 s[30:31]
.Lfunc_end12:
	.size	_ZN12_GLOBAL__N_17runRingI12hip_bfloat167FuncSumIS1_E11ProtoSimpleILi1ELi1ELi0ELi4ELi0ELi0EELi0ELi4ELi1EEEviiP15ncclDevWorkColl, .Lfunc_end12-_ZN12_GLOBAL__N_17runRingI12hip_bfloat167FuncSumIS1_E11ProtoSimpleILi1ELi1ELi0ELi4ELi0ELi0EELi0ELi4ELi1EEEviiP15ncclDevWorkColl
                                        ; -- End function
	.section	.AMDGPU.csdata,"",@progbits
; Function info:
; codeLenInByte = 45316
; NumSgprs: 77
; NumVgprs: 64
; NumAgprs: 52
; TotalNumVgprs: 116
; ScratchSize: 288
; MemoryBound: 1
	.text
	.p2align	2                               ; -- Begin function _Z45ncclDevFunc_Reduce_RING_SIMPLE_Sum_bf16_0_1_4v
	.type	_Z45ncclDevFunc_Reduce_RING_SIMPLE_Sum_bf16_0_1_4v,@function
_Z45ncclDevFunc_Reduce_RING_SIMPLE_Sum_bf16_0_1_4v: ; @_Z45ncclDevFunc_Reduce_RING_SIMPLE_Sum_bf16_0_1_4v
; %bb.0:
	s_waitcnt vmcnt(0) expcnt(0) lgkmcnt(0)
	s_mov_b32 s4, s33
	s_mov_b32 s33, s32
	s_or_saveexec_b64 s[6:7], -1
	buffer_store_dword v43, off, s[0:3], s33 offset:16 ; 4-byte Folded Spill
	s_mov_b64 exec, s[6:7]
	v_writelane_b32 v43, s4, 49
	s_addk_i32 s32, 0x800
	buffer_store_dword v40, off, s[0:3], s33 offset:12 ; 4-byte Folded Spill
	buffer_store_dword v41, off, s[0:3], s33 offset:8 ; 4-byte Folded Spill
	;; [unrolled: 1-line block ×3, first 2 shown]
	buffer_store_dword v63, off, s[0:3], s33 ; 4-byte Folded Spill
	v_writelane_b32 v43, s34, 0
	v_writelane_b32 v43, s35, 1
	;; [unrolled: 1-line block ×49, first 2 shown]
	s_trap 2
	ds_read_b32 v0, v0
	v_mov_b32_e32 v40, v31
	s_mov_b32 s73, s12
	s_mov_b64 s[74:75], s[8:9]
	s_waitcnt lgkmcnt(0)
	v_cmp_gt_i32_e32 vcc, 1, v0
	s_cbranch_vccnz .LBB13_8
; %bb.1:
	s_mov_b32 s80, 0
	v_and_b32_e32 v41, 0x3ff, v40
	s_mov_b64 s[76:77], src_shared_base
	v_mov_b32_e32 v42, 6
	s_branch .LBB13_3
.LBB13_2:                               ;   in Loop: Header=BB13_3 Depth=1
	s_or_b64 exec, exec, s[78:79]
	s_trap 2
	ds_read_b32 v0, v0
	s_add_i32 s80, s80, 1
	s_waitcnt lgkmcnt(0)
	v_cmp_lt_i32_e32 vcc, s80, v0
	s_cbranch_vccz .LBB13_8
.LBB13_3:                               ; =>This Inner Loop Header: Depth=1
	s_trap 2
	ds_read_b32 v0, v0
	s_cmp_eq_u32 s80, 0
	s_cbranch_scc1 .LBB13_6
; %bb.4:                                ;   in Loop: Header=BB13_3 Depth=1
	s_trap 2
	s_waitcnt lgkmcnt(0)
	ds_read_b32 v1, v0
	s_waitcnt lgkmcnt(0)
	v_xor_b32_e32 v1, v1, v0
	v_and_b32_e32 v1, 0xff0000, v1
	v_cmp_eq_u32_e32 vcc, 0, v1
	s_cbranch_vccnz .LBB13_6
; %bb.5:                                ;   in Loop: Header=BB13_3 Depth=1
	s_barrier
	ds_read_b32 v0, v0
.LBB13_6:                               ;   in Loop: Header=BB13_3 Depth=1
	s_waitcnt lgkmcnt(0)
	v_lshlrev_b32_sdwa v1, v42, v0 dst_sel:DWORD dst_unused:UNUSED_PAD src0_sel:DWORD src1_sel:BYTE_2
	v_cmp_lt_u32_e32 vcc, v41, v1
	s_and_saveexec_b64 s[78:79], vcc
	s_cbranch_execz .LBB13_2
; %bb.7:                                ;   in Loop: Header=BB13_3 Depth=1
	s_mov_b64 s[8:9], s[74:75]
	s_mov_b32 s12, s73
	v_mov_b32_e32 v31, v40
	v_mov_b32_e32 v0, v41
	;; [unrolled: 1-line block ×3, first 2 shown]
	s_getpc_b64 s[4:5]
	s_add_u32 s4, s4, _ZN12_GLOBAL__N_17runRingI12hip_bfloat167FuncSumIS1_E11ProtoSimpleILi1ELi1ELi0ELi4ELi0ELi0EELi0ELi4ELi1EEEviiP15ncclDevWorkColl@rel32@lo+4
	s_addc_u32 s5, s5, _ZN12_GLOBAL__N_17runRingI12hip_bfloat167FuncSumIS1_E11ProtoSimpleILi1ELi1ELi0ELi4ELi0ELi0EELi0ELi4ELi1EEEviiP15ncclDevWorkColl@rel32@hi+12
	s_swappc_b64 s[30:31], s[4:5]
	s_branch .LBB13_2
.LBB13_8:
	buffer_load_dword v63, off, s[0:3], s33 ; 4-byte Folded Reload
	buffer_load_dword v42, off, s[0:3], s33 offset:4 ; 4-byte Folded Reload
	buffer_load_dword v41, off, s[0:3], s33 offset:8 ; 4-byte Folded Reload
	;; [unrolled: 1-line block ×3, first 2 shown]
	v_readlane_b32 s30, v43, 47
	v_readlane_b32 s31, v43, 48
	v_readlane_b32 s80, v43, 46
	v_readlane_b32 s79, v43, 45
	v_readlane_b32 s78, v43, 44
	v_readlane_b32 s77, v43, 43
	v_readlane_b32 s76, v43, 42
	v_readlane_b32 s75, v43, 41
	v_readlane_b32 s74, v43, 40
	v_readlane_b32 s73, v43, 39
	v_readlane_b32 s72, v43, 38
	v_readlane_b32 s71, v43, 37
	v_readlane_b32 s70, v43, 36
	v_readlane_b32 s69, v43, 35
	v_readlane_b32 s68, v43, 34
	v_readlane_b32 s67, v43, 33
	v_readlane_b32 s66, v43, 32
	v_readlane_b32 s65, v43, 31
	v_readlane_b32 s64, v43, 30
	v_readlane_b32 s63, v43, 29
	v_readlane_b32 s62, v43, 28
	v_readlane_b32 s61, v43, 27
	v_readlane_b32 s60, v43, 26
	v_readlane_b32 s59, v43, 25
	v_readlane_b32 s58, v43, 24
	v_readlane_b32 s57, v43, 23
	v_readlane_b32 s56, v43, 22
	v_readlane_b32 s55, v43, 21
	v_readlane_b32 s54, v43, 20
	v_readlane_b32 s53, v43, 19
	v_readlane_b32 s52, v43, 18
	v_readlane_b32 s51, v43, 17
	v_readlane_b32 s50, v43, 16
	v_readlane_b32 s49, v43, 15
	v_readlane_b32 s48, v43, 14
	v_readlane_b32 s47, v43, 13
	v_readlane_b32 s46, v43, 12
	v_readlane_b32 s45, v43, 11
	v_readlane_b32 s44, v43, 10
	v_readlane_b32 s43, v43, 9
	v_readlane_b32 s42, v43, 8
	v_readlane_b32 s41, v43, 7
	v_readlane_b32 s40, v43, 6
	v_readlane_b32 s39, v43, 5
	v_readlane_b32 s38, v43, 4
	v_readlane_b32 s37, v43, 3
	v_readlane_b32 s36, v43, 2
	v_readlane_b32 s35, v43, 1
	v_readlane_b32 s34, v43, 0
	v_readlane_b32 s4, v43, 49
	s_or_saveexec_b64 s[6:7], -1
	buffer_load_dword v43, off, s[0:3], s33 offset:16 ; 4-byte Folded Reload
	s_mov_b64 exec, s[6:7]
	s_addk_i32 s32, 0xf800
	s_mov_b32 s33, s4
	s_waitcnt vmcnt(0)
	s_setpc_b64 s[30:31]
.Lfunc_end13:
	.size	_Z45ncclDevFunc_Reduce_RING_SIMPLE_Sum_bf16_0_1_4v, .Lfunc_end13-_Z45ncclDevFunc_Reduce_RING_SIMPLE_Sum_bf16_0_1_4v
                                        ; -- End function
	.section	.AMDGPU.csdata,"",@progbits
; Function info:
; codeLenInByte = 1164
; NumSgprs: 85
; NumVgprs: 64
; NumAgprs: 52
; TotalNumVgprs: 116
; ScratchSize: 320
; MemoryBound: 0
	.text
	.p2alignl 6, 3212836864
	.fill 256, 4, 3212836864
	.type	__const.__assert_fail.fmt,@object ; @__const.__assert_fail.fmt
	.section	.rodata.str1.16,"aMS",@progbits,1
	.p2align	4, 0x0
__const.__assert_fail.fmt:
	.asciz	"%s:%u: %s: Device-side assertion `%s' failed.\n"
	.size	__const.__assert_fail.fmt, 47

	.type	.str.1,@object                  ; @.str.1
	.section	.rodata.str1.1,"aMS",@progbits,1
.str.1:
	.asciz	"2*(nrecv+nsend) <= nthreads"
	.size	.str.1, 28

	.type	.str.2,@object                  ; @.str.2
.str.2:
	.asciz	"/root/src/amdgpu-assembly/repos/ROCm__rccl/hipify/src/device/prims_simple.h"
	.size	.str.2, 76

	.type	__PRETTY_FUNCTION__._ZN10PrimitivesI12hip_bfloat167FuncSumIS0_E12FanSymmetricILi1EELi0E11ProtoSimpleILi1ELi1ELi0ELi1ELi0ELi0EELi0ELb0ELi0ELi0ELi0EEC2EiiPKiS9_PKvPvmhhhP15ncclDevWorkCollP14ncclDevWorkP2pii,@object ; @__PRETTY_FUNCTION__._ZN10PrimitivesI12hip_bfloat167FuncSumIS0_E12FanSymmetricILi1EELi0E11ProtoSimpleILi1ELi1ELi0ELi1ELi0ELi0EELi0ELb0ELi0ELi0ELi0EEC2EiiPKiS9_PKvPvmhhhP15ncclDevWorkCollP14ncclDevWorkP2pii
__PRETTY_FUNCTION__._ZN10PrimitivesI12hip_bfloat167FuncSumIS0_E12FanSymmetricILi1EELi0E11ProtoSimpleILi1ELi1ELi0ELi1ELi0ELi0EELi0ELb0ELi0ELi0ELi0EEC2EiiPKiS9_PKvPvmhhhP15ncclDevWorkCollP14ncclDevWorkP2pii:
	.asciz	"Primitives<hip_bfloat16, FuncSum<hip_bfloat16>, FanSymmetric<1>, 0, ProtoSimple<1, 1, 0, 1>, 0>::Primitives(int, int, const int *, const int *, const void *, void *, uint64_t, uint8_t, uint8_t, uint8_t, struct ncclDevWorkColl *, struct ncclDevWorkP2p *, int, int) [T = hip_bfloat16, RedOp = FuncSum<hip_bfloat16>, Fan = FanSymmetric<1>, Direct = 0, Proto = ProtoSimple<1, 1, 0, 1>, P2p = 0, isNetOffload = false, Metadata = 0, Pipeline = 0, useAcc = 0]"
	.size	__PRETTY_FUNCTION__._ZN10PrimitivesI12hip_bfloat167FuncSumIS0_E12FanSymmetricILi1EELi0E11ProtoSimpleILi1ELi1ELi0ELi1ELi0ELi0EELi0ELb0ELi0ELi0ELi0EEC2EiiPKiS9_PKvPvmhhhP15ncclDevWorkCollP14ncclDevWorkP2pii, 453

	.type	__PRETTY_FUNCTION__._ZN10PrimitivesI12hip_bfloat167FuncSumIS0_E12FanSymmetricILi1EELi0E11ProtoSimpleILi1ELi1ELi0ELi1ELi0ELi0EELi0ELb0ELi0ELi1ELi0EEC2EiiPKiS9_PKvPvmhhhP15ncclDevWorkCollP14ncclDevWorkP2pii,@object ; @__PRETTY_FUNCTION__._ZN10PrimitivesI12hip_bfloat167FuncSumIS0_E12FanSymmetricILi1EELi0E11ProtoSimpleILi1ELi1ELi0ELi1ELi0ELi0EELi0ELb0ELi0ELi1ELi0EEC2EiiPKiS9_PKvPvmhhhP15ncclDevWorkCollP14ncclDevWorkP2pii
__PRETTY_FUNCTION__._ZN10PrimitivesI12hip_bfloat167FuncSumIS0_E12FanSymmetricILi1EELi0E11ProtoSimpleILi1ELi1ELi0ELi1ELi0ELi0EELi0ELb0ELi0ELi1ELi0EEC2EiiPKiS9_PKvPvmhhhP15ncclDevWorkCollP14ncclDevWorkP2pii:
	.asciz	"Primitives<hip_bfloat16, FuncSum<hip_bfloat16>, FanSymmetric<1>, 0, ProtoSimple<1, 1, 0, 1>, 0, false, 0, 1>::Primitives(int, int, const int *, const int *, const void *, void *, uint64_t, uint8_t, uint8_t, uint8_t, struct ncclDevWorkColl *, struct ncclDevWorkP2p *, int, int) [T = hip_bfloat16, RedOp = FuncSum<hip_bfloat16>, Fan = FanSymmetric<1>, Direct = 0, Proto = ProtoSimple<1, 1, 0, 1>, P2p = 0, isNetOffload = false, Metadata = 0, Pipeline = 1, useAcc = 0]"
	.size	__PRETTY_FUNCTION__._ZN10PrimitivesI12hip_bfloat167FuncSumIS0_E12FanSymmetricILi1EELi0E11ProtoSimpleILi1ELi1ELi0ELi1ELi0ELi0EELi0ELb0ELi0ELi1ELi0EEC2EiiPKiS9_PKvPvmhhhP15ncclDevWorkCollP14ncclDevWorkP2pii, 466

	.type	__PRETTY_FUNCTION__._ZN10PrimitivesI12hip_bfloat167FuncSumIS0_E12FanSymmetricILi1EELi0E11ProtoSimpleILi1ELi1ELi0ELi2ELi0ELi0EELi0ELb0ELi0ELi0ELi0EEC2EiiPKiS9_PKvPvmhhhP15ncclDevWorkCollP14ncclDevWorkP2pii,@object ; @__PRETTY_FUNCTION__._ZN10PrimitivesI12hip_bfloat167FuncSumIS0_E12FanSymmetricILi1EELi0E11ProtoSimpleILi1ELi1ELi0ELi2ELi0ELi0EELi0ELb0ELi0ELi0ELi0EEC2EiiPKiS9_PKvPvmhhhP15ncclDevWorkCollP14ncclDevWorkP2pii
__PRETTY_FUNCTION__._ZN10PrimitivesI12hip_bfloat167FuncSumIS0_E12FanSymmetricILi1EELi0E11ProtoSimpleILi1ELi1ELi0ELi2ELi0ELi0EELi0ELb0ELi0ELi0ELi0EEC2EiiPKiS9_PKvPvmhhhP15ncclDevWorkCollP14ncclDevWorkP2pii:
	.asciz	"Primitives<hip_bfloat16, FuncSum<hip_bfloat16>, FanSymmetric<1>, 0, ProtoSimple<1, 1, 0, 2>, 0>::Primitives(int, int, const int *, const int *, const void *, void *, uint64_t, uint8_t, uint8_t, uint8_t, struct ncclDevWorkColl *, struct ncclDevWorkP2p *, int, int) [T = hip_bfloat16, RedOp = FuncSum<hip_bfloat16>, Fan = FanSymmetric<1>, Direct = 0, Proto = ProtoSimple<1, 1, 0, 2>, P2p = 0, isNetOffload = false, Metadata = 0, Pipeline = 0, useAcc = 0]"
	.size	__PRETTY_FUNCTION__._ZN10PrimitivesI12hip_bfloat167FuncSumIS0_E12FanSymmetricILi1EELi0E11ProtoSimpleILi1ELi1ELi0ELi2ELi0ELi0EELi0ELb0ELi0ELi0ELi0EEC2EiiPKiS9_PKvPvmhhhP15ncclDevWorkCollP14ncclDevWorkP2pii, 453

	.type	__PRETTY_FUNCTION__._ZN10PrimitivesI12hip_bfloat167FuncSumIS0_E12FanSymmetricILi1EELi0E11ProtoSimpleILi1ELi1ELi0ELi2ELi0ELi0EELi0ELb0ELi0ELi1ELi0EEC2EiiPKiS9_PKvPvmhhhP15ncclDevWorkCollP14ncclDevWorkP2pii,@object ; @__PRETTY_FUNCTION__._ZN10PrimitivesI12hip_bfloat167FuncSumIS0_E12FanSymmetricILi1EELi0E11ProtoSimpleILi1ELi1ELi0ELi2ELi0ELi0EELi0ELb0ELi0ELi1ELi0EEC2EiiPKiS9_PKvPvmhhhP15ncclDevWorkCollP14ncclDevWorkP2pii
__PRETTY_FUNCTION__._ZN10PrimitivesI12hip_bfloat167FuncSumIS0_E12FanSymmetricILi1EELi0E11ProtoSimpleILi1ELi1ELi0ELi2ELi0ELi0EELi0ELb0ELi0ELi1ELi0EEC2EiiPKiS9_PKvPvmhhhP15ncclDevWorkCollP14ncclDevWorkP2pii:
	.asciz	"Primitives<hip_bfloat16, FuncSum<hip_bfloat16>, FanSymmetric<1>, 0, ProtoSimple<1, 1, 0, 2>, 0, false, 0, 1>::Primitives(int, int, const int *, const int *, const void *, void *, uint64_t, uint8_t, uint8_t, uint8_t, struct ncclDevWorkColl *, struct ncclDevWorkP2p *, int, int) [T = hip_bfloat16, RedOp = FuncSum<hip_bfloat16>, Fan = FanSymmetric<1>, Direct = 0, Proto = ProtoSimple<1, 1, 0, 2>, P2p = 0, isNetOffload = false, Metadata = 0, Pipeline = 1, useAcc = 0]"
	.size	__PRETTY_FUNCTION__._ZN10PrimitivesI12hip_bfloat167FuncSumIS0_E12FanSymmetricILi1EELi0E11ProtoSimpleILi1ELi1ELi0ELi2ELi0ELi0EELi0ELb0ELi0ELi1ELi0EEC2EiiPKiS9_PKvPvmhhhP15ncclDevWorkCollP14ncclDevWorkP2pii, 466

	.type	__PRETTY_FUNCTION__._ZN10PrimitivesI12hip_bfloat167FuncSumIS0_E12FanSymmetricILi1EELi0E11ProtoSimpleILi1ELi1ELi0ELi4ELi0ELi0EELi0ELb0ELi0ELi0ELi0EEC2EiiPKiS9_PKvPvmhhhP15ncclDevWorkCollP14ncclDevWorkP2pii,@object ; @__PRETTY_FUNCTION__._ZN10PrimitivesI12hip_bfloat167FuncSumIS0_E12FanSymmetricILi1EELi0E11ProtoSimpleILi1ELi1ELi0ELi4ELi0ELi0EELi0ELb0ELi0ELi0ELi0EEC2EiiPKiS9_PKvPvmhhhP15ncclDevWorkCollP14ncclDevWorkP2pii
__PRETTY_FUNCTION__._ZN10PrimitivesI12hip_bfloat167FuncSumIS0_E12FanSymmetricILi1EELi0E11ProtoSimpleILi1ELi1ELi0ELi4ELi0ELi0EELi0ELb0ELi0ELi0ELi0EEC2EiiPKiS9_PKvPvmhhhP15ncclDevWorkCollP14ncclDevWorkP2pii:
	.asciz	"Primitives<hip_bfloat16, FuncSum<hip_bfloat16>, FanSymmetric<1>, 0, ProtoSimple<1, 1, 0, 4>, 0>::Primitives(int, int, const int *, const int *, const void *, void *, uint64_t, uint8_t, uint8_t, uint8_t, struct ncclDevWorkColl *, struct ncclDevWorkP2p *, int, int) [T = hip_bfloat16, RedOp = FuncSum<hip_bfloat16>, Fan = FanSymmetric<1>, Direct = 0, Proto = ProtoSimple<1, 1, 0, 4>, P2p = 0, isNetOffload = false, Metadata = 0, Pipeline = 0, useAcc = 0]"
	.size	__PRETTY_FUNCTION__._ZN10PrimitivesI12hip_bfloat167FuncSumIS0_E12FanSymmetricILi1EELi0E11ProtoSimpleILi1ELi1ELi0ELi4ELi0ELi0EELi0ELb0ELi0ELi0ELi0EEC2EiiPKiS9_PKvPvmhhhP15ncclDevWorkCollP14ncclDevWorkP2pii, 453

	.type	__PRETTY_FUNCTION__._ZN10PrimitivesI12hip_bfloat167FuncSumIS0_E12FanSymmetricILi1EELi0E11ProtoSimpleILi1ELi1ELi0ELi4ELi0ELi0EELi0ELb0ELi0ELi1ELi0EEC2EiiPKiS9_PKvPvmhhhP15ncclDevWorkCollP14ncclDevWorkP2pii,@object ; @__PRETTY_FUNCTION__._ZN10PrimitivesI12hip_bfloat167FuncSumIS0_E12FanSymmetricILi1EELi0E11ProtoSimpleILi1ELi1ELi0ELi4ELi0ELi0EELi0ELb0ELi0ELi1ELi0EEC2EiiPKiS9_PKvPvmhhhP15ncclDevWorkCollP14ncclDevWorkP2pii
__PRETTY_FUNCTION__._ZN10PrimitivesI12hip_bfloat167FuncSumIS0_E12FanSymmetricILi1EELi0E11ProtoSimpleILi1ELi1ELi0ELi4ELi0ELi0EELi0ELb0ELi0ELi1ELi0EEC2EiiPKiS9_PKvPvmhhhP15ncclDevWorkCollP14ncclDevWorkP2pii:
	.asciz	"Primitives<hip_bfloat16, FuncSum<hip_bfloat16>, FanSymmetric<1>, 0, ProtoSimple<1, 1, 0, 4>, 0, false, 0, 1>::Primitives(int, int, const int *, const int *, const void *, void *, uint64_t, uint8_t, uint8_t, uint8_t, struct ncclDevWorkColl *, struct ncclDevWorkP2p *, int, int) [T = hip_bfloat16, RedOp = FuncSum<hip_bfloat16>, Fan = FanSymmetric<1>, Direct = 0, Proto = ProtoSimple<1, 1, 0, 4>, P2p = 0, isNetOffload = false, Metadata = 0, Pipeline = 1, useAcc = 0]"
	.size	__PRETTY_FUNCTION__._ZN10PrimitivesI12hip_bfloat167FuncSumIS0_E12FanSymmetricILi1EELi0E11ProtoSimpleILi1ELi1ELi0ELi4ELi0ELi0EELi0ELb0ELi0ELi1ELi0EEC2EiiPKiS9_PKvPvmhhhP15ncclDevWorkCollP14ncclDevWorkP2pii, 466

	.type	__hip_cuid_8a73753af99e1e98,@object ; @__hip_cuid_8a73753af99e1e98
	.section	.bss,"aw",@nobits
	.globl	__hip_cuid_8a73753af99e1e98
__hip_cuid_8a73753af99e1e98:
	.byte	0                               ; 0x0
	.size	__hip_cuid_8a73753af99e1e98, 1

	.ident	"AMD clang version 19.0.0git (https://github.com/RadeonOpenCompute/llvm-project roc-6.4.0 25133 c7fe45cf4b819c5991fe208aaa96edf142730f1d)"
	.section	".note.GNU-stack","",@progbits
	.addrsig
	.addrsig_sym _Z45ncclDevFunc_Reduce_RING_SIMPLE_Sum_bf16_0_0_1v
	.addrsig_sym _Z45ncclDevFunc_Reduce_RING_SIMPLE_Sum_bf16_0_1_1v
	.addrsig_sym _Z45ncclDevFunc_Reduce_RING_SIMPLE_Sum_bf16_0_0_2v
	.addrsig_sym _Z45ncclDevFunc_Reduce_RING_SIMPLE_Sum_bf16_0_1_2v
	.addrsig_sym _Z45ncclDevFunc_Reduce_RING_SIMPLE_Sum_bf16_0_0_4v
	.addrsig_sym _Z45ncclDevFunc_Reduce_RING_SIMPLE_Sum_bf16_0_1_4v
	.addrsig_sym ncclShmem
	.addrsig_sym __hip_cuid_8a73753af99e1e98
	.amdgpu_metadata
---
amdhsa.kernels:  []
amdhsa.target:   amdgcn-amd-amdhsa--gfx90a
amdhsa.version:
  - 1
  - 2
...

	.end_amdgpu_metadata
